;; amdgpu-corpus repo=ROCm/rocFFT kind=compiled arch=gfx1100 opt=O3
	.text
	.amdgcn_target "amdgcn-amd-amdhsa--gfx1100"
	.amdhsa_code_object_version 6
	.protected	bluestein_single_fwd_len3200_dim1_sp_op_CI_CI ; -- Begin function bluestein_single_fwd_len3200_dim1_sp_op_CI_CI
	.globl	bluestein_single_fwd_len3200_dim1_sp_op_CI_CI
	.p2align	8
	.type	bluestein_single_fwd_len3200_dim1_sp_op_CI_CI,@function
bluestein_single_fwd_len3200_dim1_sp_op_CI_CI: ; @bluestein_single_fwd_len3200_dim1_sp_op_CI_CI
; %bb.0:
	s_load_b128 s[16:19], s[0:1], 0x28
	v_mul_u32_u24_e32 v1, 0x19a, v0
	s_mov_b32 s2, exec_lo
	v_mov_b32_e32 v214, 0
	s_delay_alu instid0(VALU_DEP_2) | instskip(NEXT) | instid1(VALU_DEP_1)
	v_lshrrev_b32_e32 v1, 16, v1
	v_add_nc_u32_e32 v213, s15, v1
	s_waitcnt lgkmcnt(0)
	s_delay_alu instid0(VALU_DEP_1)
	v_cmpx_gt_u64_e64 s[16:17], v[213:214]
	s_cbranch_execz .LBB0_2
; %bb.1:
	s_clause 0x1
	s_load_b128 s[4:7], s[0:1], 0x18
	s_load_b128 s[8:11], s[0:1], 0x0
	v_mul_lo_u16 v1, 0xa0, v1
	s_load_b64 s[0:1], s[0:1], 0x38
	s_delay_alu instid0(VALU_DEP_1) | instskip(NEXT) | instid1(VALU_DEP_1)
	v_sub_nc_u16 v74, v0, v1
	v_and_b32_e32 v190, 0xffff, v74
	s_waitcnt lgkmcnt(0)
	s_load_b128 s[12:15], s[4:5], 0x0
	s_add_u32 s2, s8, 0x6400
	s_addc_u32 s3, s9, 0
	s_waitcnt lgkmcnt(0)
	v_mad_u64_u32 v[0:1], null, s14, v213, 0
	v_mad_u64_u32 v[2:3], null, s12, v190, 0
	s_mul_i32 s4, s13, 0xa00
	s_mul_hi_u32 s14, s12, 0xa00
	s_mul_i32 s5, s12, 0xa00
	s_add_i32 s4, s14, s4
	s_delay_alu instid0(VALU_DEP_1) | instskip(NEXT) | instid1(VALU_DEP_1)
	v_mad_u64_u32 v[4:5], null, s15, v213, v[1:2]
	v_mov_b32_e32 v1, v4
	v_or_b32_e32 v9, 0x500, v190
	v_mad_u64_u32 v[7:8], null, s13, v190, v[3:4]
	v_lshlrev_b32_e32 v192, 3, v190
	v_or_b32_e32 v12, 0xa00, v190
	s_delay_alu instid0(VALU_DEP_4) | instskip(SKIP_2) | instid1(VALU_DEP_4)
	v_mad_u64_u32 v[5:6], null, s12, v9, 0
	v_lshlrev_b32_e32 v72, 3, v9
	v_lshlrev_b64 v[0:1], 3, v[0:1]
	v_mov_b32_e32 v23, v12
	v_mov_b32_e32 v3, v7
	s_clause 0x1
	global_load_b64 v[127:128], v192, s[8:9]
	global_load_b64 v[105:106], v72, s[8:9]
	v_mov_b32_e32 v4, v6
	v_add_co_u32 v16, vcc_lo, s18, v0
	v_lshlrev_b64 v[2:3], 3, v[2:3]
	v_add_co_ci_u32_e32 v17, vcc_lo, s19, v1, vcc_lo
	s_delay_alu instid0(VALU_DEP_4)
	v_mad_u64_u32 v[6:7], null, s13, v9, v[4:5]
	scratch_store_b32 off, v9, off          ; 4-byte Folded Spill
	v_add_co_u32 v0, vcc_lo, v16, v2
	v_add_co_ci_u32_e32 v1, vcc_lo, v17, v3, vcc_lo
	v_mad_u64_u32 v[8:9], null, s12, v12, 0
	v_lshlrev_b64 v[2:3], 3, v[5:6]
	global_load_b64 v[4:5], v[0:1], off
	v_add_co_u32 v21, s14, s8, v192
	s_delay_alu instid0(VALU_DEP_1)
	v_add_co_ci_u32_e64 v22, null, s9, 0, s14
	v_add_co_u32 v2, vcc_lo, v16, v2
	v_add_co_ci_u32_e32 v3, vcc_lo, v17, v3, vcc_lo
	v_add_co_u32 v0, vcc_lo, v0, s5
	v_add_co_ci_u32_e32 v1, vcc_lo, s4, v1, vcc_lo
	global_load_b64 v[2:3], v[2:3], off
	global_load_b64 v[107:108], v192, s[8:9] offset:2560
	global_load_b64 v[6:7], v[0:1], off
	v_mad_u64_u32 v[10:11], null, s13, v12, v[9:10]
	v_add_co_u32 v11, vcc_lo, 0x3000, v21
	v_add_co_ci_u32_e32 v12, vcc_lo, 0, v22, vcc_lo
	v_add_co_u32 v0, vcc_lo, v0, s5
	s_delay_alu instid0(VALU_DEP_4) | instskip(SKIP_1) | instid1(VALU_DEP_3)
	v_mov_b32_e32 v9, v10
	v_add_co_ci_u32_e32 v1, vcc_lo, s4, v1, vcc_lo
	v_add_co_u32 v13, vcc_lo, v0, s5
	scratch_store_b32 off, v23, off offset:4 ; 4-byte Folded Spill
	v_add_co_ci_u32_e32 v14, vcc_lo, s4, v1, vcc_lo
	s_clause 0x3
	global_load_b64 v[123:124], v192, s[8:9] offset:3840
	global_load_b64 v[125:126], v192, s[8:9] offset:1280
	global_load_b64 v[115:116], v[11:12], off offset:512
	global_load_b64 v[111:112], v[11:12], off offset:1792
	v_add_nc_u32_e32 v196, 0x3c00, v192
	v_add_nc_u32_e32 v194, 0x1400, v192
	;; [unrolled: 1-line block ×5, first 2 shown]
	global_load_b64 v[0:1], v[0:1], off
	v_lshlrev_b32_e32 v73, 3, v23
	v_add_nc_u32_e32 v193, 0x2800, v192
	v_add_nc_u32_e32 v195, 0x5000, v192
	;; [unrolled: 1-line block ×6, first 2 shown]
	s_waitcnt vmcnt(8)
	v_mul_f32_e32 v15, v5, v128
	v_mul_f32_e32 v10, v4, v128
	v_lshlrev_b64 v[8:9], 3, v[8:9]
	s_delay_alu instid0(VALU_DEP_3) | instskip(NEXT) | instid1(VALU_DEP_2)
	v_fmac_f32_e32 v15, v4, v127
	v_add_co_u32 v8, vcc_lo, v16, v8
	s_delay_alu instid0(VALU_DEP_3)
	v_add_co_ci_u32_e32 v9, vcc_lo, v17, v9, vcc_lo
	s_waitcnt vmcnt(7)
	v_mul_f32_e32 v4, v3, v106
	v_mul_f32_e32 v19, v2, v106
	v_fma_f32 v16, v5, v127, -v10
	global_load_b64 v[17:18], v[13:14], off
	s_waitcnt vmcnt(6)
	v_mul_f32_e32 v10, v6, v108
	v_fmac_f32_e32 v4, v2, v105
	v_mul_f32_e32 v2, v7, v108
	v_fma_f32 v5, v3, v105, -v19
	v_add_co_u32 v19, vcc_lo, 0x1000, v21
	v_add_co_ci_u32_e32 v20, vcc_lo, 0, v22, vcc_lo
	s_clause 0x2
	global_load_b64 v[139:140], v[19:20], off offset:1024
	global_load_b64 v[135:136], v[19:20], off offset:2304
	;; [unrolled: 1-line block ×3, first 2 shown]
	global_load_b64 v[8:9], v[8:9], off
	v_fmac_f32_e32 v2, v6, v107
	v_fma_f32 v3, v7, v107, -v10
	s_waitcnt vmcnt(3)
	v_mul_f32_e32 v6, v0, v140
	s_delay_alu instid0(VALU_DEP_1) | instskip(SKIP_1) | instid1(VALU_DEP_1)
	v_fma_f32 v7, v1, v139, -v6
	v_mul_f32_e32 v6, v1, v140
	v_fmac_f32_e32 v6, v0, v139
	s_waitcnt vmcnt(1)
	v_mul_f32_e32 v0, v17, v134
	s_delay_alu instid0(VALU_DEP_1) | instskip(SKIP_1) | instid1(VALU_DEP_1)
	v_fma_f32 v1, v18, v133, -v0
	v_mul_f32_e32 v0, v18, v134
	v_fmac_f32_e32 v0, v17, v133
	v_add_co_u32 v17, vcc_lo, 0x5000, v21
	v_add_co_ci_u32_e32 v18, vcc_lo, 0, v22, vcc_lo
	s_clause 0x2
	global_load_b64 v[109:110], v73, s[8:9]
	global_load_b64 v[113:114], v[17:18], off offset:3840
	global_load_b64 v[117:118], v[17:18], off offset:1280
	s_mul_i32 s8, s13, 0x1400
	s_waitcnt vmcnt(2)
	v_mul_f32_e32 v10, v8, v110
	s_delay_alu instid0(VALU_DEP_1) | instskip(SKIP_1) | instid1(VALU_DEP_1)
	v_fma_f32 v10, v9, v109, -v10
	v_mul_f32_e32 v9, v9, v110
	v_fmac_f32_e32 v9, v8, v109
	ds_store_b64 v192, v[2:3] offset:2560
	ds_store_b64 v192, v[6:7] offset:5120
	;; [unrolled: 1-line block ×4, first 2 shown]
	v_mad_u64_u32 v[0:1], null, 0x1400, s12, v[13:14]
	global_load_b64 v[129:130], v[11:12], off offset:3072
	v_add_nc_u32_e32 v1, s8, v1
	v_add_co_u32 v2, vcc_lo, v0, s5
	s_delay_alu instid0(VALU_DEP_2) | instskip(SKIP_3) | instid1(VALU_DEP_1)
	v_add_co_ci_u32_e32 v3, vcc_lo, s4, v1, vcc_lo
	global_load_b64 v[0:1], v[0:1], off
	s_waitcnt vmcnt(0)
	v_mul_f32_e32 v4, v0, v116
	v_fma_f32 v5, v1, v115, -v4
	v_mul_f32_e32 v4, v1, v116
	s_delay_alu instid0(VALU_DEP_1)
	v_fmac_f32_e32 v4, v0, v115
	v_add_co_u32 v0, vcc_lo, v2, s5
	v_add_co_ci_u32_e32 v1, vcc_lo, s4, v3, vcc_lo
	global_load_b64 v[2:3], v[2:3], off
	s_waitcnt vmcnt(0)
	v_mul_f32_e32 v6, v2, v130
	s_delay_alu instid0(VALU_DEP_1) | instskip(SKIP_1) | instid1(VALU_DEP_1)
	v_fma_f32 v7, v3, v129, -v6
	v_mul_f32_e32 v6, v3, v130
	v_fmac_f32_e32 v6, v2, v129
	v_add_co_u32 v2, vcc_lo, 0x4000, v21
	v_add_co_ci_u32_e32 v3, vcc_lo, 0, v22, vcc_lo
	s_clause 0x2
	global_load_b64 v[121:122], v[2:3], off offset:2816
	global_load_b64 v[131:132], v[2:3], off offset:1536
	;; [unrolled: 1-line block ×3, first 2 shown]
	global_load_b64 v[2:3], v[0:1], off
	s_waitcnt vmcnt(0)
	v_mul_f32_e32 v8, v2, v132
	v_mul_f32_e32 v11, v3, v132
	s_delay_alu instid0(VALU_DEP_2) | instskip(NEXT) | instid1(VALU_DEP_2)
	v_fma_f32 v12, v3, v131, -v8
	v_fmac_f32_e32 v11, v2, v131
	v_mad_u64_u32 v[2:3], null, 0x1400, s12, v[0:1]
	s_delay_alu instid0(VALU_DEP_1) | instskip(SKIP_3) | instid1(SALU_CYCLE_1)
	v_add_nc_u32_e32 v3, s8, v3
	global_load_b64 v[119:120], v[17:18], off offset:2560
	global_load_b64 v[0:1], v[2:3], off
	s_mul_i32 s8, s13, 0xffffab00
	s_sub_i32 s8, s8, s12
	s_waitcnt vmcnt(0)
	v_mul_f32_e32 v8, v0, v120
	v_mul_f32_e32 v13, v1, v120
	s_delay_alu instid0(VALU_DEP_2) | instskip(NEXT) | instid1(VALU_DEP_2)
	v_fma_f32 v14, v1, v119, -v8
	v_fmac_f32_e32 v13, v0, v119
	v_mad_u64_u32 v[0:1], null, 0xffffab00, s12, v[2:3]
	s_delay_alu instid0(VALU_DEP_1)
	v_add_nc_u32_e32 v1, s8, v1
	global_load_b64 v[2:3], v[0:1], off
	v_add_co_u32 v0, vcc_lo, v0, s5
	v_add_co_ci_u32_e32 v1, vcc_lo, s4, v1, vcc_lo
	s_waitcnt vmcnt(0)
	v_mul_f32_e32 v17, v3, v126
	v_mul_f32_e32 v8, v2, v126
	s_delay_alu instid0(VALU_DEP_2) | instskip(SKIP_1) | instid1(VALU_DEP_3)
	v_fmac_f32_e32 v17, v2, v125
	v_add_co_u32 v2, vcc_lo, v0, s5
	v_fma_f32 v18, v3, v125, -v8
	ds_store_b64 v192, v[4:5] offset:12800
	ds_store_b64 v192, v[6:7] offset:15360
	;; [unrolled: 1-line block ×5, first 2 shown]
	ds_store_2addr_b64 v192, v[15:16], v[17:18] offset1:160
	v_add_co_ci_u32_e32 v3, vcc_lo, s4, v1, vcc_lo
	global_load_b64 v[0:1], v[0:1], off
	s_waitcnt vmcnt(0)
	v_mul_f32_e32 v4, v0, v124
	s_delay_alu instid0(VALU_DEP_1) | instskip(SKIP_1) | instid1(VALU_DEP_1)
	v_fma_f32 v5, v1, v123, -v4
	v_mul_f32_e32 v4, v1, v124
	v_fmac_f32_e32 v4, v0, v123
	v_add_co_u32 v0, vcc_lo, v2, s5
	v_add_co_ci_u32_e32 v1, vcc_lo, s4, v3, vcc_lo
	global_load_b64 v[2:3], v[2:3], off
	s_waitcnt vmcnt(0)
	v_mul_f32_e32 v6, v2, v136
	s_delay_alu instid0(VALU_DEP_1) | instskip(SKIP_1) | instid1(VALU_DEP_1)
	v_fma_f32 v7, v3, v135, -v6
	v_mul_f32_e32 v6, v3, v136
	v_fmac_f32_e32 v6, v2, v135
	v_add_co_u32 v2, vcc_lo, 0x2000, v21
	v_add_co_ci_u32_e32 v3, vcc_lo, 0, v22, vcc_lo
	v_add_co_u32 v8, vcc_lo, v0, s5
	v_add_co_ci_u32_e32 v9, vcc_lo, s4, v1, vcc_lo
	global_load_b64 v[0:1], v[0:1], off
	s_clause 0x1
	global_load_b64 v[143:144], v[2:3], off offset:768
	global_load_b64 v[141:142], v[2:3], off offset:3328
	global_load_b64 v[10:11], v[8:9], off
	v_add_co_u32 v8, vcc_lo, v8, s5
	v_add_co_ci_u32_e32 v9, vcc_lo, s4, v9, vcc_lo
	s_waitcnt vmcnt(2)
	v_mul_f32_e32 v2, v0, v144
	s_delay_alu instid0(VALU_DEP_1) | instskip(SKIP_2) | instid1(VALU_DEP_1)
	v_fma_f32 v2, v1, v143, -v2
	v_mul_f32_e32 v1, v1, v144
	s_waitcnt vmcnt(0)
	v_dual_fmac_f32 v1, v0, v143 :: v_dual_mul_f32 v0, v10, v142
	s_delay_alu instid0(VALU_DEP_1) | instskip(SKIP_2) | instid1(VALU_DEP_2)
	v_fma_f32 v12, v11, v141, -v0
	v_mul_f32_e32 v11, v11, v142
	v_add_co_u32 v0, vcc_lo, v8, s5
	v_fmac_f32_e32 v11, v10, v141
	ds_store_b64 v192, v[4:5] offset:3840
	ds_store_b64 v192, v[6:7] offset:6400
	;; [unrolled: 1-line block ×4, first 2 shown]
	global_load_b64 v[2:3], v[8:9], off
	v_add_co_ci_u32_e32 v1, vcc_lo, s4, v9, vcc_lo
	v_add_co_u32 v5, vcc_lo, v0, s5
	s_delay_alu instid0(VALU_DEP_2)
	v_add_co_ci_u32_e32 v6, vcc_lo, s4, v1, vcc_lo
	global_load_b64 v[0:1], v[0:1], off
	v_add_co_u32 v7, vcc_lo, v5, s5
	v_add_co_ci_u32_e32 v8, vcc_lo, s4, v6, vcc_lo
	global_load_b64 v[5:6], v[5:6], off
	s_waitcnt vmcnt(2)
	v_mul_f32_e32 v4, v2, v112
	s_delay_alu instid0(VALU_DEP_1) | instskip(SKIP_2) | instid1(VALU_DEP_1)
	v_fma_f32 v4, v3, v111, -v4
	v_mul_f32_e32 v3, v3, v112
	s_waitcnt vmcnt(1)
	v_dual_fmac_f32 v3, v2, v111 :: v_dual_mul_f32 v2, v0, v138
	s_waitcnt vmcnt(0)
	v_mul_f32_e32 v9, v6, v122
	s_delay_alu instid0(VALU_DEP_2) | instskip(SKIP_1) | instid1(VALU_DEP_3)
	v_fma_f32 v2, v1, v137, -v2
	v_mul_f32_e32 v1, v1, v138
	v_fmac_f32_e32 v9, v5, v121
	s_delay_alu instid0(VALU_DEP_2) | instskip(SKIP_1) | instid1(VALU_DEP_2)
	v_dual_fmac_f32 v1, v0, v137 :: v_dual_mul_f32 v0, v5, v122
	v_add_co_u32 v5, vcc_lo, v7, s5
	v_fma_f32 v10, v6, v121, -v0
	v_add_co_ci_u32_e32 v6, vcc_lo, s4, v8, vcc_lo
	global_load_b64 v[7:8], v[7:8], off
	v_cmp_gt_u16_e32 vcc_lo, 0x64, v74
	global_load_b64 v[5:6], v[5:6], off
	s_waitcnt vmcnt(1)
	v_mul_f32_e32 v0, v7, v118
	v_mul_f32_e32 v11, v8, v118
	s_delay_alu instid0(VALU_DEP_2) | instskip(SKIP_1) | instid1(VALU_DEP_2)
	v_fma_f32 v12, v8, v117, -v0
	s_waitcnt vmcnt(0)
	v_dual_mul_f32 v0, v5, v114 :: v_dual_fmac_f32 v11, v7, v117
	s_delay_alu instid0(VALU_DEP_1) | instskip(SKIP_1) | instid1(VALU_DEP_1)
	v_fma_f32 v7, v6, v113, -v0
	v_mul_f32_e32 v6, v6, v114
	v_fmac_f32_e32 v6, v5, v113
	ds_store_b64 v192, v[3:4] offset:14080
	ds_store_b64 v192, v[1:2] offset:16640
	;; [unrolled: 1-line block ×5, first 2 shown]
	s_load_b128 s[4:7], s[6:7], 0x0
	s_waitcnt lgkmcnt(0)
	s_waitcnt_vscnt null, 0x0
	s_barrier
	buffer_gl0_inv
	ds_load_2addr_b64 v[0:3], v192 offset1:160
	ds_load_2addr_b64 v[4:7], v194 offset1:160
	;; [unrolled: 1-line block ×5, first 2 shown]
	s_waitcnt lgkmcnt(3)
	v_add_f32_e32 v12, v0, v4
	s_waitcnt lgkmcnt(2)
	v_sub_f32_e32 v56, v4, v8
	s_waitcnt lgkmcnt(1)
	v_sub_f32_e32 v30, v9, v21
	s_waitcnt lgkmcnt(0)
	v_add_f32_e32 v61, v5, v38
	v_add_f32_e32 v19, v7, v40
	;; [unrolled: 1-line block ×4, first 2 shown]
	v_sub_f32_e32 v33, v4, v37
	v_sub_f32_e32 v63, v20, v37
	v_add_f32_e32 v35, v8, v20
	v_sub_f32_e32 v57, v8, v4
	v_dual_add_f32 v25, v12, v9 :: v_dual_add_f32 v12, v2, v6
	v_dual_add_f32 v36, v9, v21 :: v_dual_sub_f32 v31, v8, v20
	v_dual_sub_f32 v58, v5, v9 :: v_dual_sub_f32 v29, v40, v23
	s_delay_alu instid0(VALU_DEP_3) | instskip(SKIP_3) | instid1(VALU_DEP_3)
	v_add_f32_e32 v26, v12, v10
	v_dual_add_f32 v12, v3, v7 :: v_dual_sub_f32 v59, v9, v5
	v_sub_f32_e32 v16, v6, v10
	v_dual_sub_f32 v13, v10, v6 :: v_dual_add_f32 v14, v11, v23
	v_dual_add_f32 v27, v12, v11 :: v_dual_add_f32 v12, v10, v22
	v_sub_f32_e32 v9, v10, v22
	v_sub_f32_e32 v17, v7, v11
	v_dual_sub_f32 v15, v11, v7 :: v_dual_sub_f32 v32, v5, v38
	v_add_f32_e32 v60, v4, v37
	v_sub_f32_e32 v10, v7, v40
	v_dual_add_f32 v18, v6, v39 :: v_dual_add_f32 v5, v25, v21
	v_sub_f32_e32 v8, v11, v23
	v_dual_sub_f32 v11, v6, v39 :: v_dual_add_f32 v4, v24, v20
	v_dual_add_f32 v6, v26, v22 :: v_dual_add_f32 v7, v27, v23
	v_sub_f32_e32 v62, v37, v20
	v_sub_f32_e32 v24, v23, v40
	s_delay_alu instid0(VALU_DEP_4) | instskip(NEXT) | instid1(VALU_DEP_4)
	v_dual_add_f32 v66, v4, v37 :: v_dual_add_f32 v67, v5, v38
	v_dual_add_f32 v20, v6, v39 :: v_dual_add_f32 v23, v7, v40
	ds_load_2addr_b64 v[4:7], v201 offset0:64 offset1:224
	ds_load_2addr_b64 v[44:47], v200 offset0:64 offset1:224
	;; [unrolled: 1-line block ×3, first 2 shown]
	v_dual_sub_f32 v64, v38, v21 :: v_dual_sub_f32 v65, v21, v38
	v_add_nc_u32_e32 v198, 0x4400, v192
	ds_load_2addr_b64 v[52:55], v197 offset0:64 offset1:224
	v_sub_f32_e32 v25, v22, v39
	v_add_f32_e32 v17, v17, v29
	ds_load_2addr_b64 v[48:51], v198 offset0:64 offset1:224
	v_sub_f32_e32 v28, v39, v22
	s_waitcnt lgkmcnt(0)
	s_barrier
	buffer_gl0_inv
	v_add_f32_e32 v21, v4, v44
	v_sub_f32_e32 v76, v44, v40
	v_sub_f32_e32 v77, v40, v44
	;; [unrolled: 1-line block ×4, first 2 shown]
	v_dual_sub_f32 v27, v47, v55 :: v_dual_add_f32 v34, v21, v40
	v_dual_add_f32 v21, v5, v45 :: v_dual_sub_f32 v38, v47, v43
	v_add_f32_e32 v71, v40, v48
	v_sub_f32_e32 v75, v41, v49
	v_add_f32_e32 v78, v41, v49
	s_delay_alu instid0(VALU_DEP_4)
	v_dual_add_f32 v68, v21, v41 :: v_dual_add_f32 v21, v6, v46
	v_sub_f32_e32 v79, v40, v48
	v_add_f32_e32 v39, v42, v50
	v_sub_f32_e32 v40, v42, v46
	v_sub_f32_e32 v22, v42, v50
	v_add_f32_e32 v69, v21, v42
	v_add_f32_e32 v21, v7, v47
	v_dual_sub_f32 v42, v43, v47 :: v_dual_sub_f32 v87, v50, v54
	v_add_f32_e32 v83, v44, v52
	v_add_f32_e32 v85, v45, v53
	s_delay_alu instid0(VALU_DEP_4)
	v_add_f32_e32 v70, v21, v43
	v_dual_sub_f32 v80, v45, v41 :: v_dual_add_f32 v41, v43, v51
	v_sub_f32_e32 v26, v46, v54
	v_add_f32_e32 v34, v34, v48
	v_dual_sub_f32 v82, v45, v53 :: v_dual_add_f32 v45, v46, v54
	v_dual_add_f32 v46, v47, v55 :: v_dual_add_f32 v47, v68, v49
	v_sub_f32_e32 v21, v43, v51
	v_dual_sub_f32 v43, v54, v50 :: v_dual_add_f32 v16, v16, v28
	v_fma_f32 v18, -0.5, v18, v2
	s_delay_alu instid0(VALU_DEP_4) | instskip(SKIP_3) | instid1(VALU_DEP_3)
	v_dual_add_f32 v90, v47, v53 :: v_dual_add_f32 v47, v57, v63
	v_fma_f32 v57, -0.5, v60, v0
	v_dual_add_f32 v68, v69, v50 :: v_dual_add_f32 v69, v70, v51
	v_sub_f32_e32 v84, v44, v52
	v_dual_add_f32 v50, v59, v65 :: v_dual_fmamk_f32 v59, v30, 0xbf737871, v57
	v_fmac_f32_e32 v57, 0x3f737871, v30
	v_fma_f32 v60, -0.5, v61, v1
	v_sub_f32_e32 v86, v53, v49
	v_dual_sub_f32 v44, v55, v51 :: v_dual_add_f32 v89, v34, v52
	s_delay_alu instid0(VALU_DEP_4) | instskip(NEXT) | instid1(VALU_DEP_4)
	v_dual_fmac_f32 v57, 0xbf167918, v32 :: v_dual_add_f32 v34, v68, v54
	v_fmamk_f32 v61, v31, 0x3f737871, v60
	v_fmac_f32_e32 v59, 0x3f167918, v32
	v_fmac_f32_e32 v60, 0xbf737871, v31
	v_sub_f32_e32 v70, v52, v48
	v_dual_sub_f32 v48, v48, v52 :: v_dual_fmac_f32 v57, 0x3e9e377a, v47
	v_dual_sub_f32 v88, v51, v55 :: v_dual_fmac_f32 v61, 0xbf167918, v33
	v_fmac_f32_e32 v59, 0x3e9e377a, v47
	v_fmac_f32_e32 v60, 0x3f167918, v33
	v_fma_f32 v47, -0.5, v83, v4
	v_dual_sub_f32 v49, v49, v53 :: v_dual_add_f32 v56, v56, v62
	v_fmac_f32_e32 v61, 0x3e9e377a, v50
	s_delay_alu instid0(VALU_DEP_4) | instskip(NEXT) | instid1(VALU_DEP_4)
	v_fmac_f32_e32 v60, 0x3e9e377a, v50
	v_fmamk_f32 v50, v75, 0xbf737871, v47
	v_dual_fmac_f32 v47, 0x3f737871, v75 :: v_dual_add_f32 v58, v58, v64
	v_add_f32_e32 v49, v81, v49
	v_add_f32_e32 v48, v77, v48
	s_delay_alu instid0(VALU_DEP_4) | instskip(NEXT) | instid1(VALU_DEP_4)
	v_fmac_f32_e32 v50, 0x3f167918, v82
	v_fmac_f32_e32 v47, 0xbf167918, v82
	v_add_f32_e32 v62, v76, v70
	v_fma_f32 v0, -0.5, v35, v0
	v_add_f32_e32 v55, v69, v55
	v_fma_f32 v4, -0.5, v71, v4
	v_fmac_f32_e32 v47, 0x3e9e377a, v48
	v_fmac_f32_e32 v50, 0x3e9e377a, v48
	v_fma_f32 v48, -0.5, v85, v5
	v_add_f32_e32 v64, v80, v86
	v_fmamk_f32 v35, v32, 0x3f737871, v0
	v_fmac_f32_e32 v0, 0xbf737871, v32
	v_fma_f32 v5, -0.5, v78, v5
	v_fmamk_f32 v51, v79, 0x3f737871, v48
	v_fmac_f32_e32 v48, 0xbf737871, v79
	v_fmac_f32_e32 v35, 0x3f167918, v30
	v_fmac_f32_e32 v0, 0xbf167918, v30
	v_fma_f32 v1, -0.5, v36, v1
	v_fmac_f32_e32 v51, 0xbf167918, v84
	v_fmac_f32_e32 v48, 0x3f167918, v84
	;; [unrolled: 1-line block ×3, first 2 shown]
	v_fmamk_f32 v52, v84, 0xbf737871, v5
	s_delay_alu instid0(VALU_DEP_4) | instskip(NEXT) | instid1(VALU_DEP_4)
	v_dual_fmac_f32 v0, 0x3e9e377a, v56 :: v_dual_fmac_f32 v51, 0x3e9e377a, v49
	v_fmac_f32_e32 v48, 0x3e9e377a, v49
	v_fmamk_f32 v49, v82, 0x3f737871, v4
	v_fmac_f32_e32 v4, 0xbf737871, v82
	v_mul_f32_e32 v70, 0xbe9e377a, v47
	v_mul_f32_e32 v68, 0x3f737871, v51
	;; [unrolled: 1-line block ×3, first 2 shown]
	v_fmac_f32_e32 v49, 0x3f167918, v75
	v_fmac_f32_e32 v5, 0x3f737871, v84
	;; [unrolled: 1-line block ×4, first 2 shown]
	v_add_f32_e32 v48, v67, v90
	v_fmac_f32_e32 v49, 0x3e9e377a, v62
	v_fmac_f32_e32 v68, 0x3e9e377a, v50
	v_fmamk_f32 v36, v33, 0xbf737871, v1
	v_fmac_f32_e32 v1, 0x3f737871, v33
	v_fmac_f32_e32 v5, 0x3f167918, v79
	;; [unrolled: 1-line block ×3, first 2 shown]
	v_dual_fmac_f32 v52, 0xbf167918, v79 :: v_dual_mul_f32 v65, 0xbf167918, v49
	s_delay_alu instid0(VALU_DEP_4) | instskip(NEXT) | instid1(VALU_DEP_4)
	v_fmac_f32_e32 v1, 0x3f167918, v31
	v_fmac_f32_e32 v5, 0x3e9e377a, v64
	;; [unrolled: 1-line block ×3, first 2 shown]
	v_mul_f32_e32 v31, 0xbf4f1bbd, v4
	v_dual_fmac_f32 v52, 0x3e9e377a, v64 :: v_dual_add_f32 v53, v57, v70
	v_dual_add_f32 v28, v37, v43 :: v_dual_mul_f32 v69, 0xbf737871, v50
	s_delay_alu instid0(VALU_DEP_3) | instskip(SKIP_1) | instid1(VALU_DEP_4)
	v_fmac_f32_e32 v31, 0x3f167918, v5
	v_mul_f32_e32 v5, 0xbf4f1bbd, v5
	v_fmac_f32_e32 v65, 0x3f4f1bbd, v52
	v_fma_f32 v2, -0.5, v12, v2
	v_fmac_f32_e32 v69, 0x3e9e377a, v51
	v_add_f32_e32 v51, v59, v68
	v_fmac_f32_e32 v5, 0xbf167918, v4
	v_fmac_f32_e32 v36, 0x3e9e377a, v58
	;; [unrolled: 1-line block ×3, first 2 shown]
	v_mul_lo_u16 v47, v74, 10
	v_dual_add_f32 v4, v42, v88 :: v_dual_fmac_f32 v1, 0x3e9e377a, v58
	s_delay_alu instid0(VALU_DEP_4) | instskip(NEXT) | instid1(VALU_DEP_4)
	v_add_f32_e32 v50, v36, v65
	v_add_f32_e32 v54, v60, v71
	s_delay_alu instid0(VALU_DEP_4) | instskip(SKIP_2) | instid1(VALU_DEP_3)
	v_and_b32_e32 v47, 0xffff, v47
	v_dual_mul_f32 v63, 0x3f4f1bbd, v49 :: v_dual_sub_f32 v32, v0, v31
	v_sub_f32_e32 v33, v1, v5
	v_dual_add_f32 v29, v38, v44 :: v_dual_lshlrev_b32 v204, 3, v47
	s_delay_alu instid0(VALU_DEP_3) | instskip(SKIP_1) | instid1(VALU_DEP_2)
	v_fmac_f32_e32 v63, 0x3f167918, v52
	v_add_f32_e32 v47, v66, v89
	v_dual_add_f32 v52, v61, v69 :: v_dual_add_f32 v49, v35, v63
	ds_store_b128 v204, v[47:50]
	ds_store_b128 v204, v[51:54] offset:16
	v_dual_sub_f32 v49, v66, v89 :: v_dual_sub_f32 v50, v67, v90
	v_dual_sub_f32 v51, v35, v63 :: v_dual_sub_f32 v54, v61, v69
	v_add_f32_e32 v47, v0, v31
	v_sub_f32_e32 v31, v60, v71
	v_sub_f32_e32 v52, v36, v65
	v_add_f32_e32 v48, v1, v5
	v_sub_f32_e32 v30, v57, v70
	v_fma_f32 v1, -0.5, v41, v7
	v_fmac_f32_e32 v7, -0.5, v46
	v_sub_f32_e32 v53, v59, v68
	ds_store_b128 v204, v[47:50] offset:32
	ds_store_b128 v204, v[51:54] offset:48
	ds_store_b128 v204, v[30:33] offset:64
	v_fma_f32 v5, -0.5, v45, v6
	v_fmamk_f32 v31, v22, 0x3f737871, v7
	v_fma_f32 v33, -0.5, v39, v6
	v_add_f32_e32 v6, v13, v25
	v_fma_f32 v25, -0.5, v14, v3
	v_fmamk_f32 v30, v21, 0xbf737871, v5
	v_fmac_f32_e32 v5, 0x3f737871, v21
	v_fmac_f32_e32 v7, 0xbf737871, v22
	v_fmac_f32_e32 v3, -0.5, v19
	v_fmamk_f32 v19, v8, 0xbf737871, v18
	v_fmac_f32_e32 v18, 0x3f737871, v8
	v_dual_fmamk_f32 v39, v11, 0xbf737871, v25 :: v_dual_add_f32 v0, v40, v87
	v_dual_fmac_f32 v7, 0x3f167918, v26 :: v_dual_fmac_f32 v30, 0x3f167918, v27
	s_delay_alu instid0(VALU_DEP_2) | instskip(SKIP_2) | instid1(VALU_DEP_4)
	v_dual_fmac_f32 v18, 0xbf167918, v10 :: v_dual_fmac_f32 v39, 0xbf167918, v9
	v_fmac_f32_e32 v31, 0xbf167918, v26
	v_fmac_f32_e32 v5, 0xbf167918, v27
	;; [unrolled: 1-line block ×3, first 2 shown]
	s_delay_alu instid0(VALU_DEP_4) | instskip(NEXT) | instid1(VALU_DEP_4)
	v_dual_fmac_f32 v30, 0x3e9e377a, v0 :: v_dual_fmac_f32 v39, 0x3e9e377a, v17
	v_fmac_f32_e32 v31, 0x3e9e377a, v4
	v_fmamk_f32 v4, v26, 0xbf737871, v1
	v_dual_fmac_f32 v5, 0x3e9e377a, v0 :: v_dual_fmac_f32 v18, 0x3e9e377a, v6
	v_fmamk_f32 v0, v27, 0x3f737871, v33
	v_fmac_f32_e32 v19, 0x3f167918, v10
	s_delay_alu instid0(VALU_DEP_4) | instskip(SKIP_1) | instid1(VALU_DEP_4)
	v_fmac_f32_e32 v4, 0xbf167918, v22
	v_add_co_u32 v32, null, 0xa0, v190
	v_fmac_f32_e32 v0, 0x3f167918, v21
	v_fmac_f32_e32 v33, 0xbf737871, v27
	s_delay_alu instid0(VALU_DEP_4) | instskip(SKIP_1) | instid1(VALU_DEP_4)
	v_fmac_f32_e32 v4, 0x3e9e377a, v29
	v_dual_mul_f32 v35, 0xbe9e377a, v5 :: v_dual_mul_f32 v36, 0xbe9e377a, v7
	v_fmac_f32_e32 v0, 0x3e9e377a, v28
	s_delay_alu instid0(VALU_DEP_2) | instskip(SKIP_1) | instid1(VALU_DEP_1)
	v_fmac_f32_e32 v36, 0xbf737871, v5
	v_mul_f32_e32 v38, 0x3f737871, v31
	v_dual_add_f32 v5, v23, v55 :: v_dual_fmac_f32 v38, 0x3e9e377a, v30
	s_delay_alu instid0(VALU_DEP_4) | instskip(SKIP_2) | instid1(VALU_DEP_3)
	v_mul_f32_e32 v37, 0x3f4f1bbd, v0
	v_mul_f32_e32 v0, 0xbf167918, v0
	v_mul_f32_e32 v30, 0xbf737871, v30
	v_fmac_f32_e32 v37, 0x3f167918, v4
	s_delay_alu instid0(VALU_DEP_3)
	v_fmac_f32_e32 v0, 0x3f4f1bbd, v4
	v_mul_u32_u24_e32 v4, 10, v32
	v_fmac_f32_e32 v35, 0x3f737871, v7
	v_dual_add_f32 v7, v15, v24 :: v_dual_fmamk_f32 v24, v9, 0x3f737871, v3
	v_fmac_f32_e32 v3, 0xbf737871, v9
	v_fmac_f32_e32 v30, 0x3e9e377a, v31
	v_dual_fmamk_f32 v31, v10, 0x3f737871, v2 :: v_dual_lshlrev_b32 v202, 3, v4
	s_delay_alu instid0(VALU_DEP_4) | instskip(NEXT) | instid1(VALU_DEP_4)
	v_fmac_f32_e32 v24, 0xbf167918, v11
	v_dual_fmac_f32 v3, 0x3f167918, v11 :: v_dual_add_f32 v4, v20, v34
	s_delay_alu instid0(VALU_DEP_3) | instskip(NEXT) | instid1(VALU_DEP_3)
	v_fmac_f32_e32 v31, 0x3f167918, v8
	v_dual_fmac_f32 v19, 0x3e9e377a, v6 :: v_dual_fmac_f32 v24, 0x3e9e377a, v7
	v_add_f32_e32 v14, v18, v35
	v_fmac_f32_e32 v2, 0xbf737871, v10
	s_delay_alu instid0(VALU_DEP_4) | instskip(SKIP_3) | instid1(VALU_DEP_4)
	v_fmac_f32_e32 v31, 0x3e9e377a, v16
	v_fmac_f32_e32 v3, 0x3e9e377a, v7
	v_add_f32_e32 v7, v39, v0
	v_add_f32_e32 v12, v19, v38
	v_dual_add_f32 v13, v24, v30 :: v_dual_add_f32 v6, v31, v37
	s_delay_alu instid0(VALU_DEP_4)
	v_add_f32_e32 v15, v3, v36
	ds_store_b128 v202, v[4:7]
	ds_store_b128 v202, v[12:15] offset:16
	v_sub_f32_e32 v14, v19, v38
	v_fmac_f32_e32 v1, 0x3f737871, v26
	v_dual_fmac_f32 v33, 0xbf167918, v21 :: v_dual_fmac_f32 v2, 0xbf167918, v8
	v_sub_f32_e32 v7, v23, v55
	v_dual_sub_f32 v13, v39, v0 :: v_dual_sub_f32 v0, v18, v35
	s_delay_alu instid0(VALU_DEP_4) | instskip(NEXT) | instid1(VALU_DEP_4)
	v_fmac_f32_e32 v1, 0x3f167918, v22
	v_fmac_f32_e32 v33, 0x3e9e377a, v28
	;; [unrolled: 1-line block ×3, first 2 shown]
	v_sub_f32_e32 v6, v20, v34
	v_dual_sub_f32 v12, v31, v37 :: v_dual_sub_f32 v15, v24, v30
	v_fmac_f32_e32 v1, 0x3e9e377a, v29
	v_mul_f32_e32 v8, 0xbf4f1bbd, v33
	s_delay_alu instid0(VALU_DEP_1) | instskip(NEXT) | instid1(VALU_DEP_1)
	v_fmac_f32_e32 v8, 0x3f167918, v1
	v_dual_fmac_f32 v25, 0x3f737871, v11 :: v_dual_add_f32 v4, v2, v8
	s_delay_alu instid0(VALU_DEP_1) | instskip(SKIP_2) | instid1(VALU_DEP_3)
	v_dual_fmac_f32 v25, 0x3f167918, v9 :: v_dual_sub_f32 v2, v2, v8
	v_mul_f32_e32 v9, 0xbf4f1bbd, v1
	v_sub_f32_e32 v1, v3, v36
	v_fmac_f32_e32 v25, 0x3e9e377a, v17
	s_delay_alu instid0(VALU_DEP_3) | instskip(NEXT) | instid1(VALU_DEP_1)
	v_fmac_f32_e32 v9, 0xbf167918, v33
	v_add_f32_e32 v5, v25, v9
	v_sub_f32_e32 v3, v25, v9
	ds_store_b128 v202, v[4:7] offset:32
	ds_store_b128 v202, v[12:15] offset:48
	ds_store_b128 v202, v[0:3] offset:64
	v_and_b32_e32 v0, 0xff, v74
	s_waitcnt lgkmcnt(0)
	s_barrier
	buffer_gl0_inv
	ds_load_2addr_b64 v[8:11], v201 offset0:64 offset1:224
	v_and_b32_e32 v1, 0xffff, v32
	v_mul_lo_u16 v0, 0xcd, v0
	s_delay_alu instid0(VALU_DEP_2) | instskip(NEXT) | instid1(VALU_DEP_2)
	v_mul_u32_u24_e32 v1, 0xcccd, v1
	v_lshrrev_b16 v55, 11, v0
	s_delay_alu instid0(VALU_DEP_2) | instskip(NEXT) | instid1(VALU_DEP_2)
	v_lshrrev_b32_e32 v33, 19, v1
	v_mul_lo_u16 v0, v55, 10
	s_delay_alu instid0(VALU_DEP_2) | instskip(NEXT) | instid1(VALU_DEP_2)
	v_mul_lo_u16 v1, v33, 10
	v_sub_nc_u16 v0, v74, v0
	s_delay_alu instid0(VALU_DEP_2) | instskip(NEXT) | instid1(VALU_DEP_2)
	v_sub_nc_u16 v34, v32, v1
	v_and_b32_e32 v53, 0xff, v0
	s_delay_alu instid0(VALU_DEP_2) | instskip(NEXT) | instid1(VALU_DEP_2)
	v_mul_lo_u16 v0, 0x48, v34
	v_mad_u64_u32 v[16:17], null, 0x48, v53, s[10:11]
	v_mad_u16 v33, 0x64, v33, v34
	s_delay_alu instid0(VALU_DEP_3)
	v_and_b32_e32 v0, 0xffff, v0
	global_load_b128 v[4:7], v[16:17], off offset:16
	v_add_co_u32 v45, s8, s10, v0
	global_load_b128 v[0:3], v[16:17], off
	v_add_co_ci_u32_e64 v46, null, s11, 0, s8
	s_clause 0x1
	global_load_b64 v[145:146], v[16:17], off offset:64
	global_load_b128 v[28:31], v[45:46], off
	s_waitcnt vmcnt(2) lgkmcnt(0)
	v_mul_f32_e32 v12, v9, v1
	v_mul_f32_e32 v56, v8, v1
	s_delay_alu instid0(VALU_DEP_2) | instskip(SKIP_4) | instid1(VALU_DEP_3)
	v_fma_f32 v54, v8, v0, -v12
	s_waitcnt vmcnt(0)
	v_mul_f32_e32 v8, v11, v29
	v_mul_f32_e32 v36, v10, v29
	v_fmac_f32_e32 v56, v9, v0
	v_fma_f32 v35, v10, v28, -v8
	s_delay_alu instid0(VALU_DEP_3) | instskip(SKIP_4) | instid1(VALU_DEP_2)
	v_fmac_f32_e32 v36, v11, v28
	ds_load_2addr_b64 v[8:11], v194 offset1:160
	s_waitcnt lgkmcnt(0)
	v_mul_f32_e32 v57, v8, v3
	v_mul_f32_e32 v12, v9, v3
	v_dual_mul_f32 v40, v10, v31 :: v_dual_fmac_f32 v57, v9, v2
	s_delay_alu instid0(VALU_DEP_2) | instskip(SKIP_1) | instid1(VALU_DEP_3)
	v_fma_f32 v58, v8, v2, -v12
	v_mul_f32_e32 v8, v11, v31
	v_fmac_f32_e32 v40, v11, v30
	s_delay_alu instid0(VALU_DEP_2) | instskip(SKIP_4) | instid1(VALU_DEP_2)
	v_fma_f32 v39, v10, v30, -v8
	ds_load_2addr_b64 v[8:11], v200 offset0:64 offset1:224
	s_waitcnt lgkmcnt(0)
	v_mul_f32_e32 v12, v9, v5
	v_mul_f32_e32 v59, v8, v5
	v_fma_f32 v60, v8, v4, -v12
	s_clause 0x1
	global_load_b128 v[20:23], v[45:46], off offset:16
	global_load_b128 v[12:15], v[45:46], off offset:32
	v_fmac_f32_e32 v59, v9, v4
	s_delay_alu instid0(VALU_DEP_1) | instskip(SKIP_3) | instid1(VALU_DEP_2)
	v_dual_add_f32 v80, v54, v60 :: v_dual_add_f32 v81, v56, v59
	s_waitcnt vmcnt(1)
	v_mul_f32_e32 v8, v11, v21
	v_mul_f32_e32 v37, v10, v21
	v_fma_f32 v38, v10, v20, -v8
	s_delay_alu instid0(VALU_DEP_2)
	v_fmac_f32_e32 v37, v11, v20
	ds_load_2addr_b64 v[8:11], v193 offset1:160
	s_waitcnt lgkmcnt(0)
	v_mul_f32_e32 v18, v9, v7
	v_mul_f32_e32 v44, v10, v23
	;; [unrolled: 1-line block ×3, first 2 shown]
	s_delay_alu instid0(VALU_DEP_3) | instskip(NEXT) | instid1(VALU_DEP_3)
	v_fma_f32 v62, v8, v6, -v18
	v_fmac_f32_e32 v44, v11, v22
	s_delay_alu instid0(VALU_DEP_3) | instskip(NEXT) | instid1(VALU_DEP_1)
	v_dual_mul_f32 v8, v11, v23 :: v_dual_fmac_f32 v61, v9, v6
	v_fma_f32 v43, v10, v22, -v8
	s_clause 0x1
	global_load_b128 v[24:27], v[16:17], off offset:32
	global_load_b128 v[8:11], v[16:17], off offset:48
	ds_load_2addr_b64 v[16:19], v199 offset0:64 offset1:224
	ds_load_2addr_b64 v[49:52], v198 offset0:64 offset1:224
	s_waitcnt vmcnt(1) lgkmcnt(1)
	v_dual_sub_f32 v34, v39, v43 :: v_dual_mul_f32 v41, v17, v25
	v_mul_f32_e32 v63, v16, v25
	s_delay_alu instid0(VALU_DEP_2) | instskip(NEXT) | instid1(VALU_DEP_2)
	v_fma_f32 v64, v16, v24, -v41
	v_dual_fmac_f32 v63, v17, v24 :: v_dual_mul_f32 v16, v19, v13
	s_delay_alu instid0(VALU_DEP_2) | instskip(NEXT) | instid1(VALU_DEP_2)
	v_dual_mul_f32 v41, v18, v13 :: v_dual_add_f32 v80, v80, v64
	v_add_f32_e32 v81, v81, v63
	s_delay_alu instid0(VALU_DEP_3) | instskip(NEXT) | instid1(VALU_DEP_3)
	v_fma_f32 v42, v18, v12, -v16
	v_fmac_f32_e32 v41, v19, v12
	ds_load_2addr_b64 v[16:19], v196 offset1:160
	s_waitcnt lgkmcnt(0)
	v_mul_f32_e32 v48, v18, v15
	v_mul_f32_e32 v47, v17, v27
	s_delay_alu instid0(VALU_DEP_2) | instskip(NEXT) | instid1(VALU_DEP_2)
	v_dual_mul_f32 v65, v16, v27 :: v_dual_fmac_f32 v48, v19, v14
	v_fma_f32 v66, v16, v26, -v47
	v_mul_f32_e32 v16, v19, v15
	s_delay_alu instid0(VALU_DEP_1) | instskip(SKIP_2) | instid1(VALU_DEP_1)
	v_fma_f32 v47, v18, v14, -v16
	s_waitcnt vmcnt(0)
	v_dual_mul_f32 v16, v50, v9 :: v_dual_fmac_f32 v65, v17, v26
	v_fma_f32 v68, v49, v8, -v16
	s_clause 0x1
	global_load_b64 v[147:148], v[45:46], off offset:64
	global_load_b128 v[16:19], v[45:46], off offset:48
	ds_load_2addr_b64 v[75:78], v195 offset1:160
	v_add_f32_e32 v80, v80, v68
	v_sub_f32_e32 v91, v64, v68
	s_waitcnt lgkmcnt(0)
	v_mul_f32_e32 v69, v75, v11
	s_delay_alu instid0(VALU_DEP_1) | instskip(SKIP_2) | instid1(VALU_DEP_1)
	v_fmac_f32_e32 v69, v76, v10
	s_waitcnt vmcnt(0)
	v_mul_f32_e32 v45, v52, v17
	v_fma_f32 v46, v51, v16, -v45
	v_mul_f32_e32 v45, v51, v17
	s_delay_alu instid0(VALU_DEP_1) | instskip(SKIP_1) | instid1(VALU_DEP_2)
	v_dual_fmac_f32 v45, v52, v16 :: v_dual_mul_f32 v52, v77, v19
	v_mul_f32_e32 v67, v49, v9
	v_dual_mul_f32 v49, v76, v11 :: v_dual_fmac_f32 v52, v78, v18
	s_delay_alu instid0(VALU_DEP_1) | instskip(SKIP_1) | instid1(VALU_DEP_2)
	v_fma_f32 v70, v75, v10, -v49
	v_mul_f32_e32 v49, v78, v19
	v_dual_sub_f32 v102, v58, v70 :: v_dual_and_b32 v55, 0xffff, v55
	s_delay_alu instid0(VALU_DEP_2) | instskip(SKIP_2) | instid1(VALU_DEP_1)
	v_fma_f32 v51, v77, v18, -v49
	ds_load_2addr_b64 v[76:79], v197 offset0:64 offset1:224
	v_mul_u32_u24_e32 v55, 0x64, v55
	v_add_lshl_u32 v203, v55, v53, 3
	v_sub_f32_e32 v53, v58, v62
	s_waitcnt lgkmcnt(0)
	v_mul_f32_e32 v49, v77, v146
	s_delay_alu instid0(VALU_DEP_1) | instskip(NEXT) | instid1(VALU_DEP_1)
	v_fma_f32 v75, v76, v145, -v49
	v_dual_mul_f32 v49, v79, v148 :: v_dual_sub_f32 v90, v60, v75
	v_dual_mul_f32 v71, v76, v146 :: v_dual_add_f32 v82, v61, v65
	v_dual_add_f32 v151, v80, v75 :: v_dual_sub_f32 v100, v61, v65
	s_delay_alu instid0(VALU_DEP_2) | instskip(SKIP_3) | instid1(VALU_DEP_4)
	v_fmac_f32_e32 v71, v77, v145
	v_sub_f32_e32 v55, v70, v66
	v_fmac_f32_e32 v67, v50, v8
	v_fma_f32 v50, v78, v147, -v49
	v_dual_mul_f32 v49, v78, v148 :: v_dual_sub_f32 v92, v59, v71
	s_delay_alu instid0(VALU_DEP_4)
	v_add_f32_e32 v84, v53, v55
	v_sub_f32_e32 v53, v57, v61
	v_sub_f32_e32 v55, v69, v65
	;; [unrolled: 1-line block ×4, first 2 shown]
	v_add_f32_e32 v81, v81, v67
	s_delay_alu instid0(VALU_DEP_4) | instskip(SKIP_1) | instid1(VALU_DEP_3)
	v_add_f32_e32 v85, v53, v55
	v_sub_f32_e32 v53, v60, v64
	v_dual_sub_f32 v55, v75, v68 :: v_dual_add_f32 v152, v81, v71
	s_delay_alu instid0(VALU_DEP_1) | instskip(SKIP_2) | instid1(VALU_DEP_1)
	v_add_f32_e32 v86, v53, v55
	v_sub_f32_e32 v53, v59, v63
	v_sub_f32_e32 v55, v71, v67
	v_add_f32_e32 v87, v53, v55
	v_add_f32_e32 v53, v64, v68
	v_sub_f32_e32 v64, v64, v60
	v_add_f32_e32 v60, v60, v75
	s_delay_alu instid0(VALU_DEP_3) | instskip(NEXT) | instid1(VALU_DEP_2)
	v_fma_f32 v88, -0.5, v53, v54
	v_dual_fmac_f32 v54, -0.5, v60 :: v_dual_add_f32 v53, v63, v67
	v_sub_f32_e32 v63, v63, v59
	v_add_f32_e32 v59, v59, v71
	s_delay_alu instid0(VALU_DEP_4) | instskip(SKIP_2) | instid1(VALU_DEP_3)
	v_fmamk_f32 v55, v92, 0x3f737871, v88
	v_fmac_f32_e32 v88, 0xbf737871, v92
	v_fma_f32 v89, -0.5, v53, v56
	v_dual_fmac_f32 v56, -0.5, v59 :: v_dual_fmac_f32 v55, 0x3f167918, v93
	s_delay_alu instid0(VALU_DEP_2) | instskip(SKIP_1) | instid1(VALU_DEP_3)
	v_fmamk_f32 v53, v90, 0xbf737871, v89
	v_fmac_f32_e32 v89, 0x3f737871, v90
	v_fmac_f32_e32 v55, 0x3e9e377a, v86
	s_delay_alu instid0(VALU_DEP_3) | instskip(NEXT) | instid1(VALU_DEP_3)
	v_fmac_f32_e32 v53, 0xbf167918, v91
	v_fmac_f32_e32 v89, 0x3f167918, v91
	s_delay_alu instid0(VALU_DEP_3) | instskip(NEXT) | instid1(VALU_DEP_3)
	v_mul_f32_e32 v95, 0xbf167918, v55
	v_fmac_f32_e32 v53, 0x3e9e377a, v87
	s_delay_alu instid0(VALU_DEP_1) | instskip(NEXT) | instid1(VALU_DEP_1)
	v_mul_f32_e32 v94, 0x3f167918, v53
	v_fmac_f32_e32 v94, 0x3f4f1bbd, v55
	v_fmac_f32_e32 v49, v79, v147
	ds_load_2addr_b64 v[76:79], v192 offset1:160
	v_add_f32_e32 v55, v62, v66
	v_sub_f32_e32 v99, v57, v69
	s_waitcnt lgkmcnt(0)
	s_barrier
	buffer_gl0_inv
	v_fma_f32 v96, -0.5, v55, v76
	v_add_f32_e32 v55, v77, v57
	v_fma_f32 v97, -0.5, v82, v77
	s_delay_alu instid0(VALU_DEP_2) | instskip(NEXT) | instid1(VALU_DEP_2)
	v_add_f32_e32 v55, v55, v61
	v_fmamk_f32 v149, v102, 0xbf737871, v97
	v_fmac_f32_e32 v97, 0x3f737871, v102
	v_sub_f32_e32 v61, v61, v57
	v_add_f32_e32 v57, v57, v69
	v_add_f32_e32 v55, v55, v65
	s_delay_alu instid0(VALU_DEP_4) | instskip(NEXT) | instid1(VALU_DEP_3)
	v_fmac_f32_e32 v97, 0x3f167918, v103
	v_fma_f32 v57, -0.5, v57, v77
	v_sub_f32_e32 v77, v43, v47
	s_delay_alu instid0(VALU_DEP_3)
	v_fmac_f32_e32 v97, 0x3e9e377a, v85
	v_fmamk_f32 v101, v99, 0x3f737871, v96
	v_fmac_f32_e32 v96, 0xbf737871, v99
	v_add_f32_e32 v150, v55, v69
	v_fmac_f32_e32 v95, 0x3f4f1bbd, v53
	v_add_f32_e32 v53, v76, v58
	s_delay_alu instid0(VALU_DEP_4) | instskip(NEXT) | instid1(VALU_DEP_1)
	v_dual_add_f32 v55, v58, v70 :: v_dual_fmac_f32 v96, 0xbf167918, v100
	v_dual_add_f32 v53, v53, v62 :: v_dual_fmac_f32 v96, 0x3e9e377a, v84
	s_delay_alu instid0(VALU_DEP_1) | instskip(NEXT) | instid1(VALU_DEP_1)
	v_add_f32_e32 v53, v53, v66
	v_add_f32_e32 v98, v53, v70
	v_sub_f32_e32 v53, v62, v58
	v_sub_f32_e32 v58, v66, v70
	;; [unrolled: 1-line block ×3, first 2 shown]
	v_add_f32_e32 v69, v36, v37
	v_sub_f32_e32 v65, v68, v75
	s_delay_alu instid0(VALU_DEP_4) | instskip(NEXT) | instid1(VALU_DEP_4)
	v_dual_sub_f32 v66, v67, v71 :: v_dual_add_f32 v53, v53, v58
	v_add_f32_e32 v58, v61, v62
	v_fma_f32 v61, -0.5, v55, v76
	v_add_f32_e32 v69, v69, v41
	v_fmamk_f32 v55, v91, 0x3f737871, v56
	v_fmac_f32_e32 v56, 0xbf737871, v91
	v_add_f32_e32 v60, v64, v65
	v_fmamk_f32 v62, v100, 0xbf737871, v61
	v_fmac_f32_e32 v61, 0x3f737871, v100
	;; [unrolled: 3-line block ×3, first 2 shown]
	v_fmac_f32_e32 v62, 0x3f167918, v99
	v_fmac_f32_e32 v61, 0xbf167918, v99
	;; [unrolled: 1-line block ×7, first 2 shown]
	v_fmamk_f32 v53, v93, 0xbf737871, v54
	v_fmac_f32_e32 v54, 0x3f737871, v93
	v_fmac_f32_e32 v57, 0x3f167918, v102
	;; [unrolled: 1-line block ×11, first 2 shown]
	v_mul_f32_e32 v58, 0x3f737871, v55
	v_mul_f32_e32 v64, 0xbe9e377a, v56
	v_fmac_f32_e32 v88, 0x3e9e377a, v86
	v_mul_f32_e32 v59, 0xbf737871, v53
	v_mul_f32_e32 v60, 0xbe9e377a, v54
	v_fmac_f32_e32 v89, 0x3e9e377a, v87
	v_dual_add_f32 v81, v150, v152 :: v_dual_fmac_f32 v58, 0x3e9e377a, v53
	s_delay_alu instid0(VALU_DEP_4) | instskip(NEXT) | instid1(VALU_DEP_4)
	v_fmac_f32_e32 v59, 0x3e9e377a, v55
	v_fmac_f32_e32 v60, 0x3f737871, v56
	;; [unrolled: 1-line block ×3, first 2 shown]
	v_dual_mul_f32 v65, 0xbf4f1bbd, v88 :: v_dual_mul_f32 v66, 0xbf4f1bbd, v89
	s_delay_alu instid0(VALU_DEP_3) | instskip(NEXT) | instid1(VALU_DEP_3)
	v_dual_add_f32 v54, v63, v59 :: v_dual_add_f32 v55, v61, v60
	v_add_f32_e32 v56, v57, v64
	v_sub_f32_e32 v71, v40, v52
	s_delay_alu instid0(VALU_DEP_4)
	v_dual_add_f32 v53, v62, v58 :: v_dual_fmac_f32 v66, 0xbf167918, v88
	v_sub_f32_e32 v75, v44, v48
	v_dual_fmac_f32 v65, 0x3f167918, v89 :: v_dual_add_f32 v80, v98, v151
	ds_store_2addr_b64 v203, v[53:54], v[55:56] offset0:20 offset1:30
	v_sub_f32_e32 v53, v98, v151
	v_dual_sub_f32 v54, v150, v152 :: v_dual_add_f32 v55, v96, v65
	v_add_f32_e32 v56, v97, v66
	ds_store_2addr_b64 v203, v[55:56], v[53:54] offset0:40 offset1:50
	v_sub_f32_e32 v56, v63, v59
	v_fmac_f32_e32 v149, 0xbf167918, v103
	v_sub_f32_e32 v55, v62, v58
	s_delay_alu instid0(VALU_DEP_2) | instskip(NEXT) | instid1(VALU_DEP_1)
	v_dual_sub_f32 v62, v42, v46 :: v_dual_fmac_f32 v149, 0x3e9e377a, v85
	v_dual_fmac_f32 v101, 0x3f167918, v100 :: v_dual_sub_f32 v54, v149, v95
	s_delay_alu instid0(VALU_DEP_1) | instskip(SKIP_1) | instid1(VALU_DEP_2)
	v_fmac_f32_e32 v101, 0x3e9e377a, v84
	v_dual_add_f32 v83, v149, v95 :: v_dual_and_b32 v84, 0xffff, v33
	v_sub_f32_e32 v53, v101, v94
	ds_store_2addr_b64 v203, v[53:54], v[55:56] offset0:60 offset1:70
	v_sub_f32_e32 v53, v61, v60
	v_dual_sub_f32 v54, v57, v64 :: v_dual_sub_f32 v55, v96, v65
	v_sub_f32_e32 v56, v97, v66
	v_add_f32_e32 v82, v101, v94
	v_sub_f32_e32 v64, v41, v45
	v_sub_f32_e32 v63, v37, v49
	;; [unrolled: 1-line block ×3, first 2 shown]
	ds_store_2addr_b64 v203, v[53:54], v[55:56] offset0:80 offset1:90
	v_dual_sub_f32 v53, v51, v47 :: v_dual_add_f32 v54, v44, v48
	s_delay_alu instid0(VALU_DEP_1) | instskip(SKIP_1) | instid1(VALU_DEP_3)
	v_dual_add_f32 v55, v34, v53 :: v_dual_sub_f32 v34, v40, v44
	v_sub_f32_e32 v53, v52, v48
	v_fma_f32 v68, -0.5, v54, v79
	v_add_f32_e32 v54, v35, v38
	ds_store_2addr_b64 v203, v[80:81], v[82:83] offset1:10
	v_add_f32_e32 v56, v34, v53
	v_sub_f32_e32 v34, v38, v42
	v_sub_f32_e32 v53, v50, v46
	v_add_f32_e32 v54, v54, v42
	s_delay_alu instid0(VALU_DEP_2) | instskip(SKIP_2) | instid1(VALU_DEP_1)
	v_add_f32_e32 v57, v34, v53
	v_sub_f32_e32 v34, v37, v41
	v_sub_f32_e32 v53, v49, v45
	v_add_f32_e32 v58, v34, v53
	v_add_f32_e32 v34, v42, v46
	s_delay_alu instid0(VALU_DEP_1) | instskip(NEXT) | instid1(VALU_DEP_1)
	v_fma_f32 v59, -0.5, v34, v35
	v_dual_add_f32 v34, v41, v45 :: v_dual_fmamk_f32 v53, v63, 0x3f737871, v59
	s_delay_alu instid0(VALU_DEP_1) | instskip(NEXT) | instid1(VALU_DEP_2)
	v_fma_f32 v60, -0.5, v34, v36
	v_fmac_f32_e32 v53, 0x3f167918, v64
	s_delay_alu instid0(VALU_DEP_2) | instskip(NEXT) | instid1(VALU_DEP_2)
	v_fmamk_f32 v34, v61, 0xbf737871, v60
	v_fmac_f32_e32 v53, 0x3e9e377a, v57
	s_delay_alu instid0(VALU_DEP_2) | instskip(NEXT) | instid1(VALU_DEP_2)
	v_fmac_f32_e32 v34, 0xbf167918, v62
	v_mul_f32_e32 v66, 0xbf167918, v53
	s_delay_alu instid0(VALU_DEP_2) | instskip(NEXT) | instid1(VALU_DEP_1)
	v_fmac_f32_e32 v34, 0x3e9e377a, v58
	v_mul_f32_e32 v65, 0x3f167918, v34
	s_delay_alu instid0(VALU_DEP_3) | instskip(SKIP_1) | instid1(VALU_DEP_1)
	v_fmac_f32_e32 v66, 0x3f4f1bbd, v34
	v_add_f32_e32 v34, v78, v39
	v_add_f32_e32 v34, v34, v43
	s_delay_alu instid0(VALU_DEP_1) | instskip(NEXT) | instid1(VALU_DEP_1)
	v_add_f32_e32 v34, v34, v47
	v_add_f32_e32 v70, v34, v51
	;; [unrolled: 1-line block ×3, first 2 shown]
	v_dual_add_f32 v54, v69, v45 :: v_dual_sub_f32 v69, v39, v51
	s_delay_alu instid0(VALU_DEP_2) | instskip(NEXT) | instid1(VALU_DEP_2)
	v_add_f32_e32 v82, v34, v50
	v_fmamk_f32 v80, v69, 0xbf737871, v68
	s_delay_alu instid0(VALU_DEP_2) | instskip(NEXT) | instid1(VALU_DEP_2)
	v_dual_fmac_f32 v68, 0x3f737871, v69 :: v_dual_add_f32 v33, v70, v82
	v_fmac_f32_e32 v80, 0xbf167918, v77
	s_delay_alu instid0(VALU_DEP_2) | instskip(SKIP_2) | instid1(VALU_DEP_4)
	v_fmac_f32_e32 v68, 0x3f167918, v77
	v_fmac_f32_e32 v65, 0x3f4f1bbd, v53
	v_add_f32_e32 v53, v43, v47
	v_dual_add_f32 v83, v54, v49 :: v_dual_fmac_f32 v80, 0x3e9e377a, v56
	s_delay_alu instid0(VALU_DEP_4) | instskip(SKIP_1) | instid1(VALU_DEP_4)
	v_fmac_f32_e32 v68, 0x3e9e377a, v56
	v_lshlrev_b32_e32 v205, 3, v84
	v_fma_f32 v67, -0.5, v53, v78
	s_delay_alu instid0(VALU_DEP_4) | instskip(SKIP_2) | instid1(VALU_DEP_3)
	v_dual_add_f32 v53, v79, v40 :: v_dual_add_f32 v54, v80, v66
	v_sub_f32_e32 v43, v43, v39
	v_add_f32_e32 v39, v39, v51
	v_dual_fmamk_f32 v76, v71, 0x3f737871, v67 :: v_dual_add_f32 v53, v53, v44
	s_delay_alu instid0(VALU_DEP_2) | instskip(NEXT) | instid1(VALU_DEP_2)
	v_fma_f32 v39, -0.5, v39, v78
	v_dual_fmac_f32 v76, 0x3f167918, v75 :: v_dual_add_f32 v53, v53, v48
	s_delay_alu instid0(VALU_DEP_1) | instskip(NEXT) | instid1(VALU_DEP_1)
	v_dual_fmac_f32 v76, 0x3e9e377a, v55 :: v_dual_add_f32 v81, v53, v52
	v_dual_add_f32 v53, v76, v65 :: v_dual_add_f32 v34, v81, v83
	ds_store_2addr_b64 v205, v[33:34], v[53:54] offset1:10
	v_sub_f32_e32 v33, v44, v40
	v_add_f32_e32 v34, v40, v52
	v_sub_f32_e32 v40, v48, v52
	s_delay_alu instid0(VALU_DEP_2) | instskip(NEXT) | instid1(VALU_DEP_2)
	v_dual_sub_f32 v44, v47, v51 :: v_dual_fmac_f32 v79, -0.5, v34
	v_dual_add_f32 v33, v33, v40 :: v_dual_fmamk_f32 v40, v75, 0xbf737871, v39
	v_fmac_f32_e32 v39, 0x3f737871, v75
	s_delay_alu instid0(VALU_DEP_3) | instskip(SKIP_1) | instid1(VALU_DEP_4)
	v_dual_add_f32 v43, v43, v44 :: v_dual_sub_f32 v34, v42, v38
	v_add_f32_e32 v38, v38, v50
	v_fmac_f32_e32 v40, 0x3f167918, v71
	s_delay_alu instid0(VALU_DEP_4) | instskip(NEXT) | instid1(VALU_DEP_2)
	v_dual_fmac_f32 v39, 0xbf167918, v71 :: v_dual_sub_f32 v42, v46, v50
	v_dual_fmac_f32 v35, -0.5, v38 :: v_dual_fmac_f32 v40, 0x3e9e377a, v43
	s_delay_alu instid0(VALU_DEP_2) | instskip(SKIP_2) | instid1(VALU_DEP_4)
	v_fmac_f32_e32 v39, 0x3e9e377a, v43
	v_fmamk_f32 v43, v77, 0x3f737871, v79
	v_fmac_f32_e32 v79, 0xbf737871, v77
	v_fmamk_f32 v38, v64, 0xbf737871, v35
	v_fmac_f32_e32 v35, 0x3f737871, v64
	s_delay_alu instid0(VALU_DEP_4) | instskip(NEXT) | instid1(VALU_DEP_3)
	v_fmac_f32_e32 v43, 0xbf167918, v69
	v_dual_fmac_f32 v79, 0x3f167918, v69 :: v_dual_fmac_f32 v38, 0x3f167918, v63
	s_delay_alu instid0(VALU_DEP_3) | instskip(NEXT) | instid1(VALU_DEP_3)
	v_fmac_f32_e32 v35, 0xbf167918, v63
	v_fmac_f32_e32 v43, 0x3e9e377a, v33
	s_delay_alu instid0(VALU_DEP_3) | instskip(SKIP_1) | instid1(VALU_DEP_1)
	v_fmac_f32_e32 v79, 0x3e9e377a, v33
	v_dual_add_f32 v33, v34, v42 :: v_dual_add_f32 v34, v37, v49
	v_fmac_f32_e32 v38, 0x3e9e377a, v33
	s_delay_alu instid0(VALU_DEP_2) | instskip(SKIP_4) | instid1(VALU_DEP_3)
	v_fmac_f32_e32 v36, -0.5, v34
	v_sub_f32_e32 v34, v41, v37
	v_sub_f32_e32 v37, v45, v49
	v_fmac_f32_e32 v35, 0x3e9e377a, v33
	v_fmac_f32_e32 v60, 0x3f737871, v61
	v_add_f32_e32 v33, v34, v37
	v_fmamk_f32 v34, v62, 0x3f737871, v36
	v_dual_fmac_f32 v36, 0xbf737871, v62 :: v_dual_fmac_f32 v59, 0xbf737871, v63
	v_mul_f32_e32 v41, 0xbe9e377a, v35
	v_fmac_f32_e32 v60, 0x3f167918, v62
	s_delay_alu instid0(VALU_DEP_4) | instskip(NEXT) | instid1(VALU_DEP_4)
	v_fmac_f32_e32 v34, 0xbf167918, v61
	v_fmac_f32_e32 v36, 0x3f167918, v61
	;; [unrolled: 1-line block ×3, first 2 shown]
	s_delay_alu instid0(VALU_DEP_4) | instskip(NEXT) | instid1(VALU_DEP_4)
	v_fmac_f32_e32 v60, 0x3e9e377a, v58
	v_fmac_f32_e32 v34, 0x3e9e377a, v33
	s_delay_alu instid0(VALU_DEP_4) | instskip(NEXT) | instid1(VALU_DEP_4)
	v_fmac_f32_e32 v36, 0x3e9e377a, v33
	v_fmac_f32_e32 v59, 0x3e9e377a, v57
	s_delay_alu instid0(VALU_DEP_4) | instskip(NEXT) | instid1(VALU_DEP_4)
	v_mul_f32_e32 v45, 0xbf4f1bbd, v60
	v_mul_f32_e32 v37, 0x3f737871, v34
	s_delay_alu instid0(VALU_DEP_4)
	v_mul_f32_e32 v42, 0xbe9e377a, v36
	v_fmac_f32_e32 v41, 0x3f737871, v36
	v_mul_f32_e32 v44, 0xbf4f1bbd, v59
	v_fmac_f32_e32 v45, 0xbf167918, v59
	v_fmac_f32_e32 v37, 0x3e9e377a, v38
	;; [unrolled: 1-line block ×3, first 2 shown]
	v_dual_mul_f32 v38, 0xbf737871, v38 :: v_dual_add_f32 v35, v39, v41
	s_delay_alu instid0(VALU_DEP_3) | instskip(NEXT) | instid1(VALU_DEP_3)
	v_dual_fmac_f32 v44, 0x3f167918, v60 :: v_dual_add_f32 v33, v40, v37
	v_dual_add_f32 v36, v79, v42 :: v_dual_fmac_f32 v67, 0xbf737871, v71
	s_delay_alu instid0(VALU_DEP_3) | instskip(NEXT) | instid1(VALU_DEP_1)
	v_fmac_f32_e32 v38, 0x3e9e377a, v34
	v_dual_fmac_f32 v67, 0xbf167918, v75 :: v_dual_add_f32 v34, v43, v38
	s_delay_alu instid0(VALU_DEP_1)
	v_fmac_f32_e32 v67, 0x3e9e377a, v55
	ds_store_2addr_b64 v205, v[33:34], v[35:36] offset0:20 offset1:30
	v_dual_sub_f32 v33, v70, v82 :: v_dual_sub_f32 v34, v81, v83
	v_dual_add_f32 v36, v68, v45 :: v_dual_add_f32 v35, v67, v44
	v_add_co_u32 v70, null, 0x140, v190
	ds_store_2addr_b64 v205, v[35:36], v[33:34] offset0:40 offset1:50
	v_sub_f32_e32 v33, v76, v65
	v_sub_f32_e32 v34, v80, v66
	v_dual_sub_f32 v35, v40, v37 :: v_dual_sub_f32 v36, v43, v38
	ds_store_2addr_b64 v205, v[33:34], v[35:36] offset0:60 offset1:70
	v_sub_f32_e32 v34, v79, v42
	v_sub_f32_e32 v33, v39, v41
	v_dual_sub_f32 v35, v67, v44 :: v_dual_sub_f32 v36, v68, v45
	ds_store_2addr_b64 v205, v[33:34], v[35:36] offset0:80 offset1:90
	v_lshrrev_b16 v33, 2, v32
	s_waitcnt lgkmcnt(0)
	s_barrier
	buffer_gl0_inv
	v_and_b32_e32 v33, 0xffff, v33
	s_delay_alu instid0(VALU_DEP_1) | instskip(NEXT) | instid1(VALU_DEP_1)
	v_mul_u32_u24_e32 v33, 0x147b, v33
	v_lshrrev_b32_e32 v52, 17, v33
	s_delay_alu instid0(VALU_DEP_1) | instskip(NEXT) | instid1(VALU_DEP_1)
	v_mul_lo_u16 v33, 0x64, v52
	v_sub_nc_u16 v53, v32, v33
	v_add_nc_u32_e32 v32, 0xffffff9c, v190
	s_delay_alu instid0(VALU_DEP_2) | instskip(NEXT) | instid1(VALU_DEP_2)
	v_mul_lo_u16 v34, v53, 24
	v_cndmask_b32_e32 v58, v32, v190, vcc_lo
	s_delay_alu instid0(VALU_DEP_2) | instskip(NEXT) | instid1(VALU_DEP_2)
	v_and_b32_e32 v34, 0xffff, v34
	v_mul_i32_i24_e32 v32, 24, v58
	v_mul_hi_i32_i24_e32 v33, 24, v58
	s_delay_alu instid0(VALU_DEP_3) | instskip(NEXT) | instid1(VALU_DEP_3)
	v_add_co_u32 v36, s8, s10, v34
	v_add_co_u32 v32, vcc_lo, s10, v32
	s_delay_alu instid0(VALU_DEP_3)
	v_add_co_ci_u32_e32 v33, vcc_lo, s11, v33, vcc_lo
	s_clause 0x1
	global_load_b64 v[149:150], v[32:33], off offset:736
	global_load_b128 v[32:35], v[32:33], off offset:720
	ds_load_2addr_b64 v[38:41], v199 offset0:64 offset1:224
	v_add_co_ci_u32_e64 v37, null, s11, 0, s8
	v_cmp_lt_u16_e32 vcc_lo, 0x63, v74
	s_waitcnt vmcnt(0) lgkmcnt(0)
	v_mul_f32_e32 v42, v39, v35
	v_mul_f32_e32 v61, v38, v35
	s_delay_alu instid0(VALU_DEP_2) | instskip(NEXT) | instid1(VALU_DEP_2)
	v_fma_f32 v60, v38, v34, -v42
	v_fmac_f32_e32 v61, v39, v34
	s_clause 0x1
	global_load_b64 v[151:152], v[36:37], off offset:736
	global_load_b128 v[36:39], v[36:37], off offset:720
	s_waitcnt vmcnt(0)
	v_mul_f32_e32 v42, v41, v39
	v_mul_f32_e32 v69, v40, v39
	s_delay_alu instid0(VALU_DEP_2) | instskip(SKIP_3) | instid1(VALU_DEP_1)
	v_fma_f32 v68, v40, v38, -v42
	v_lshrrev_b16 v40, 2, v70
	ds_load_2addr_b64 v[42:45], v200 offset0:64 offset1:224
	v_dual_fmac_f32 v69, v41, v38 :: v_dual_and_b32 v40, 0xffff, v40
	v_mul_u32_u24_e32 v40, 0x147b, v40
	s_delay_alu instid0(VALU_DEP_1) | instskip(NEXT) | instid1(VALU_DEP_1)
	v_lshrrev_b32_e32 v71, 17, v40
	v_mul_lo_u16 v40, 0x64, v71
	s_waitcnt lgkmcnt(0)
	v_mul_f32_e32 v46, v43, v37
	v_mul_f32_e32 v77, v42, v37
	s_delay_alu instid0(VALU_DEP_3) | instskip(NEXT) | instid1(VALU_DEP_3)
	v_sub_nc_u16 v75, v70, v40
	v_fma_f32 v76, v42, v36, -v46
	s_delay_alu instid0(VALU_DEP_3) | instskip(NEXT) | instid1(VALU_DEP_3)
	v_fmac_f32_e32 v77, v43, v36
	v_mul_lo_u16 v40, v75, 24
	s_delay_alu instid0(VALU_DEP_1) | instskip(NEXT) | instid1(VALU_DEP_1)
	v_and_b32_e32 v40, 0xffff, v40
	v_add_co_u32 v40, s8, s10, v40
	s_delay_alu instid0(VALU_DEP_1)
	v_add_co_ci_u32_e64 v41, null, s11, 0, s8
	s_clause 0x1
	global_load_b64 v[153:154], v[40:41], off offset:736
	global_load_b128 v[40:43], v[40:41], off offset:720
	s_waitcnt vmcnt(0)
	v_mul_f32_e32 v46, v45, v41
	v_mul_f32_e32 v79, v44, v41
	s_delay_alu instid0(VALU_DEP_2) | instskip(NEXT) | instid1(VALU_DEP_2)
	v_fma_f32 v78, v44, v40, -v46
	v_fmac_f32_e32 v79, v45, v40
	ds_load_2addr_b64 v[44:47], v195 offset1:160
	s_waitcnt lgkmcnt(0)
	v_mul_f32_e32 v48, v45, v152
	v_mul_f32_e32 v81, v44, v152
	;; [unrolled: 1-line block ×3, first 2 shown]
	s_delay_alu instid0(VALU_DEP_3) | instskip(NEXT) | instid1(VALU_DEP_3)
	v_fma_f32 v80, v44, v151, -v48
	v_dual_mul_f32 v44, v47, v154 :: v_dual_fmac_f32 v81, v45, v151
	s_delay_alu instid0(VALU_DEP_3) | instskip(NEXT) | instid1(VALU_DEP_2)
	v_fmac_f32_e32 v83, v47, v153
	v_fma_f32 v82, v46, v153, -v44
	v_add_nc_u16 v44, v74, 0x1e0
	ds_load_2addr_b64 v[46:49], v196 offset1:160
	v_lshrrev_b16 v45, 2, v44
	s_delay_alu instid0(VALU_DEP_1) | instskip(NEXT) | instid1(VALU_DEP_1)
	v_and_b32_e32 v45, 0xffff, v45
	v_mul_u32_u24_e32 v45, 0x147b, v45
	s_delay_alu instid0(VALU_DEP_1) | instskip(SKIP_3) | instid1(VALU_DEP_3)
	v_lshrrev_b32_e32 v84, 17, v45
	s_waitcnt lgkmcnt(0)
	v_mul_f32_e32 v50, v47, v43
	v_mul_f32_e32 v87, v46, v43
	v_mul_lo_u16 v45, 0x64, v84
	s_delay_alu instid0(VALU_DEP_3) | instskip(NEXT) | instid1(VALU_DEP_3)
	v_fma_f32 v86, v46, v42, -v50
	v_fmac_f32_e32 v87, v47, v42
	s_delay_alu instid0(VALU_DEP_3) | instskip(NEXT) | instid1(VALU_DEP_1)
	v_sub_nc_u16 v85, v44, v45
	v_mul_lo_u16 v44, v85, 24
	s_delay_alu instid0(VALU_DEP_1) | instskip(NEXT) | instid1(VALU_DEP_1)
	v_and_b32_e32 v44, 0xffff, v44
	v_add_co_u32 v44, s8, s10, v44
	s_delay_alu instid0(VALU_DEP_1)
	v_add_co_ci_u32_e64 v45, null, s11, 0, s8
	s_clause 0x1
	global_load_b64 v[157:158], v[44:45], off offset:736
	global_load_b128 v[44:47], v[44:45], off offset:720
	ds_load_2addr_b64 v[54:57], v193 offset1:160
	s_waitcnt vmcnt(0)
	v_mul_f32_e32 v50, v49, v47
	v_mul_f32_e32 v89, v48, v47
	s_waitcnt lgkmcnt(0)
	v_mul_f32_e32 v93, v54, v45
	s_delay_alu instid0(VALU_DEP_3) | instskip(SKIP_2) | instid1(VALU_DEP_4)
	v_fma_f32 v88, v48, v46, -v50
	v_add_nc_u16 v48, v74, 0x280
	v_dual_fmac_f32 v89, v49, v46 :: v_dual_mul_f32 v50, v55, v45
	v_fmac_f32_e32 v93, v55, v44
	s_delay_alu instid0(VALU_DEP_3) | instskip(NEXT) | instid1(VALU_DEP_3)
	v_lshrrev_b16 v49, 2, v48
	v_fma_f32 v92, v54, v44, -v50
	s_delay_alu instid0(VALU_DEP_2) | instskip(NEXT) | instid1(VALU_DEP_1)
	v_and_b32_e32 v49, 0xffff, v49
	v_mul_u32_u24_e32 v49, 0x147b, v49
	s_delay_alu instid0(VALU_DEP_1) | instskip(NEXT) | instid1(VALU_DEP_1)
	v_lshrrev_b32_e32 v90, 17, v49
	v_mul_lo_u16 v49, 0x64, v90
	s_delay_alu instid0(VALU_DEP_1) | instskip(NEXT) | instid1(VALU_DEP_1)
	v_sub_nc_u16 v91, v48, v49
	v_mul_lo_u16 v48, v91, 24
	s_delay_alu instid0(VALU_DEP_1) | instskip(NEXT) | instid1(VALU_DEP_1)
	v_and_b32_e32 v48, 0xffff, v48
	v_add_co_u32 v48, s8, s10, v48
	s_delay_alu instid0(VALU_DEP_1)
	v_add_co_ci_u32_e64 v49, null, s11, 0, s8
	s_clause 0x1
	global_load_b64 v[155:156], v[48:49], off offset:736
	global_load_b128 v[48:51], v[48:49], off offset:720
	s_waitcnt vmcnt(0)
	v_mul_f32_e32 v54, v57, v49
	v_mul_f32_e32 v95, v56, v49
	s_delay_alu instid0(VALU_DEP_2) | instskip(NEXT) | instid1(VALU_DEP_2)
	v_fma_f32 v94, v56, v48, -v54
	v_fmac_f32_e32 v95, v57, v48
	ds_load_2addr_b64 v[54:57], v198 offset0:64 offset1:224
	s_waitcnt lgkmcnt(0)
	v_mul_f32_e32 v59, v57, v150
	v_dual_mul_f32 v62, v56, v150 :: v_dual_mul_f32 v97, v54, v51
	s_delay_alu instid0(VALU_DEP_2) | instskip(SKIP_1) | instid1(VALU_DEP_3)
	v_fma_f32 v59, v56, v149, -v59
	v_mul_f32_e32 v56, v55, v51
	v_dual_fmac_f32 v62, v57, v149 :: v_dual_fmac_f32 v97, v55, v50
	s_delay_alu instid0(VALU_DEP_2)
	v_fma_f32 v96, v54, v50, -v56
	ds_load_2addr_b64 v[54:57], v197 offset0:64 offset1:224
	s_waitcnt lgkmcnt(0)
	v_mul_f32_e32 v63, v55, v158
	v_mul_f32_e32 v99, v54, v158
	;; [unrolled: 1-line block ×3, first 2 shown]
	s_delay_alu instid0(VALU_DEP_3) | instskip(NEXT) | instid1(VALU_DEP_3)
	v_fma_f32 v98, v54, v157, -v63
	v_dual_mul_f32 v54, v57, v156 :: v_dual_fmac_f32 v99, v55, v157
	s_delay_alu instid0(VALU_DEP_3) | instskip(NEXT) | instid1(VALU_DEP_2)
	v_fmac_f32_e32 v101, v57, v155
	v_fma_f32 v100, v56, v155, -v54
	v_cndmask_b32_e64 v54, 0, 0x190, vcc_lo
	v_cmp_gt_u16_e32 vcc_lo, 0x50, v74
	s_delay_alu instid0(VALU_DEP_2)
	v_add_lshl_u32 v214, v58, v54, 3
	ds_load_2addr_b64 v[54:57], v194 offset1:160
	v_add_nc_u32_e32 v104, 0x400, v214
	s_waitcnt lgkmcnt(0)
	v_mul_f32_e32 v58, v57, v33
	v_mul_f32_e32 v64, v56, v33
	s_delay_alu instid0(VALU_DEP_2) | instskip(NEXT) | instid1(VALU_DEP_1)
	v_fma_f32 v63, v56, v32, -v58
	v_dual_fmac_f32 v64, v57, v32 :: v_dual_sub_f32 v65, v63, v59
	ds_load_2addr_b64 v[56:59], v192 offset1:160
	v_sub_f32_e32 v62, v64, v62
	v_fma_f32 v63, v63, 2.0, -v65
	s_delay_alu instid0(VALU_DEP_2) | instskip(SKIP_2) | instid1(VALU_DEP_1)
	v_fma_f32 v66, v64, 2.0, -v62
	s_waitcnt lgkmcnt(0)
	v_dual_sub_f32 v60, v56, v60 :: v_dual_sub_f32 v61, v57, v61
	v_fma_f32 v102, v56, 2.0, -v60
	s_delay_alu instid0(VALU_DEP_2) | instskip(SKIP_1) | instid1(VALU_DEP_2)
	v_fma_f32 v103, v57, 2.0, -v61
	v_dual_sub_f32 v64, v60, v62 :: v_dual_add_f32 v65, v61, v65
	v_dual_sub_f32 v56, v102, v63 :: v_dual_sub_f32 v57, v103, v66
	s_delay_alu instid0(VALU_DEP_2) | instskip(NEXT) | instid1(VALU_DEP_3)
	v_fma_f32 v66, v60, 2.0, -v64
	v_fma_f32 v67, v61, 2.0, -v65
	ds_load_2addr_b64 v[60:63], v201 offset0:64 offset1:224
	s_waitcnt lgkmcnt(0)
	s_barrier
	buffer_gl0_inv
	ds_store_2addr_b64 v104, v[56:57], v[64:65] offset0:72 offset1:172
	v_fma_f32 v56, v102, 2.0, -v56
	v_fma_f32 v57, v103, 2.0, -v57
	v_dual_sub_f32 v64, v58, v68 :: v_dual_sub_f32 v65, v59, v69
	v_mad_u16 v68, 0x190, v52, v53
	ds_store_2addr_b64 v214, v[56:57], v[66:67] offset1:100
	v_sub_f32_e32 v57, v76, v80
	v_fma_f32 v66, v58, 2.0, -v64
	v_sub_f32_e32 v56, v77, v81
	v_fma_f32 v67, v59, 2.0, -v65
	s_delay_alu instid0(VALU_DEP_4) | instskip(SKIP_1) | instid1(VALU_DEP_4)
	v_fma_f32 v58, v76, 2.0, -v57
	v_add_f32_e32 v57, v65, v57
	v_fma_f32 v59, v77, 2.0, -v56
	v_sub_f32_e32 v56, v64, v56
	s_delay_alu instid0(VALU_DEP_4) | instskip(NEXT) | instid1(VALU_DEP_4)
	v_sub_f32_e32 v58, v66, v58
	v_fma_f32 v53, v65, 2.0, -v57
	s_delay_alu instid0(VALU_DEP_4) | instskip(NEXT) | instid1(VALU_DEP_4)
	v_sub_f32_e32 v59, v67, v59
	v_fma_f32 v52, v64, 2.0, -v56
	s_delay_alu instid0(VALU_DEP_4) | instskip(SKIP_1) | instid1(VALU_DEP_4)
	v_fma_f32 v64, v66, 2.0, -v58
	v_and_b32_e32 v66, 0xffff, v68
	v_fma_f32 v65, v67, 2.0, -v59
	s_delay_alu instid0(VALU_DEP_2)
	v_lshlrev_b32_e32 v206, 3, v66
	ds_store_2addr_b64 v206, v[64:65], v[52:53] offset1:100
	v_add_nc_u32_e32 v52, 0x400, v206
	v_sub_f32_e32 v53, v78, v82
	v_mad_u16 v64, 0x190, v71, v75
	v_mad_u64_u32 v[75:76], null, v190, 24, s[10:11]
	scratch_store_b32 off, v52, off offset:16 ; 4-byte Folded Spill
	ds_store_2addr_b64 v52, v[58:59], v[56:57] offset0:72 offset1:172
	v_sub_f32_e32 v52, v79, v83
	v_dual_sub_f32 v58, v60, v86 :: v_dual_sub_f32 v59, v61, v87
	v_fma_f32 v56, v78, 2.0, -v53
	v_and_b32_e32 v64, 0xffff, v64
	s_delay_alu instid0(VALU_DEP_4) | instskip(NEXT) | instid1(VALU_DEP_4)
	v_fma_f32 v57, v79, 2.0, -v52
	v_fma_f32 v60, v60, 2.0, -v58
	;; [unrolled: 1-line block ×3, first 2 shown]
	v_dual_sub_f32 v52, v58, v52 :: v_dual_add_f32 v53, v59, v53
	v_lshlrev_b32_e32 v191, 3, v64
	s_delay_alu instid0(VALU_DEP_3) | instskip(NEXT) | instid1(VALU_DEP_3)
	v_dual_sub_f32 v56, v60, v56 :: v_dual_sub_f32 v57, v61, v57
	v_fma_f32 v58, v58, 2.0, -v52
	s_delay_alu instid0(VALU_DEP_4) | instskip(NEXT) | instid1(VALU_DEP_3)
	v_fma_f32 v59, v59, 2.0, -v53
	v_fma_f32 v60, v60, 2.0, -v56
	s_delay_alu instid0(VALU_DEP_4)
	v_fma_f32 v61, v61, 2.0, -v57
	ds_store_2addr_b64 v191, v[60:61], v[58:59] offset1:100
	v_dual_sub_f32 v59, v63, v89 :: v_dual_add_nc_u32 v58, 0x400, v191
	scratch_store_b32 off, v58, off offset:24 ; 4-byte Folded Spill
	ds_store_2addr_b64 v58, v[56:57], v[52:53] offset0:72 offset1:172
	v_dual_sub_f32 v58, v62, v88 :: v_dual_sub_f32 v53, v92, v98
	v_sub_f32_e32 v52, v93, v99
	v_fma_f32 v61, v63, 2.0, -v59
	s_delay_alu instid0(VALU_DEP_3) | instskip(NEXT) | instid1(VALU_DEP_4)
	v_fma_f32 v60, v62, 2.0, -v58
	v_fma_f32 v56, v92, 2.0, -v53
	s_delay_alu instid0(VALU_DEP_4) | instskip(SKIP_2) | instid1(VALU_DEP_3)
	v_fma_f32 v57, v93, 2.0, -v52
	v_mad_u16 v62, 0x190, v84, v85
	v_dual_sub_f32 v52, v58, v52 :: v_dual_add_f32 v53, v59, v53
	v_dual_sub_f32 v56, v60, v56 :: v_dual_sub_f32 v57, v61, v57
	s_delay_alu instid0(VALU_DEP_3) | instskip(NEXT) | instid1(VALU_DEP_3)
	v_and_b32_e32 v62, 0xffff, v62
	v_fma_f32 v58, v58, 2.0, -v52
	s_delay_alu instid0(VALU_DEP_4) | instskip(NEXT) | instid1(VALU_DEP_4)
	v_fma_f32 v59, v59, 2.0, -v53
	v_fma_f32 v60, v60, 2.0, -v56
	;; [unrolled: 1-line block ×3, first 2 shown]
	v_lshlrev_b32_e32 v215, 3, v62
	ds_store_2addr_b64 v215, v[60:61], v[58:59] offset1:100
	v_add_nc_u32_e32 v58, 0x400, v215
	v_mad_u16 v60, 0x190, v90, v91
	ds_store_2addr_b64 v58, v[56:57], v[52:53] offset0:72 offset1:172
	v_dual_sub_f32 v56, v54, v96 :: v_dual_sub_f32 v57, v55, v97
	v_dual_sub_f32 v53, v94, v100 :: v_dual_sub_f32 v52, v95, v101
	scratch_store_b32 off, v58, off offset:20 ; 4-byte Folded Spill
	v_fma_f32 v58, v54, 2.0, -v56
	v_fma_f32 v59, v55, 2.0, -v57
	;; [unrolled: 1-line block ×4, first 2 shown]
	v_dual_sub_f32 v52, v56, v52 :: v_dual_add_f32 v53, v57, v53
	v_and_b32_e32 v60, 0xffff, v60
	s_delay_alu instid0(VALU_DEP_3) | instskip(NEXT) | instid1(VALU_DEP_3)
	v_dual_sub_f32 v54, v58, v54 :: v_dual_sub_f32 v55, v59, v55
	v_fma_f32 v56, v56, 2.0, -v52
	s_delay_alu instid0(VALU_DEP_4) | instskip(NEXT) | instid1(VALU_DEP_4)
	v_fma_f32 v57, v57, 2.0, -v53
	v_lshlrev_b32_e32 v189, 3, v60
	s_delay_alu instid0(VALU_DEP_4)
	v_fma_f32 v58, v58, 2.0, -v54
	v_fma_f32 v59, v59, 2.0, -v55
	ds_store_2addr_b64 v189, v[58:59], v[56:57] offset1:100
	v_add_nc_u32_e32 v56, 0x400, v189
	s_clause 0x1
	scratch_store_b32 off, v104, off offset:8
	scratch_store_b32 off, v56, off offset:12
	ds_store_2addr_b64 v56, v[54:55], v[52:53] offset0:72 offset1:172
	v_add_nc_u32_e32 v52, 0xffffffb0, v190
	s_waitcnt lgkmcnt(0)
	s_waitcnt_vscnt null, 0x0
	s_barrier
	buffer_gl0_inv
	v_cndmask_b32_e32 v87, v52, v70, vcc_lo
	s_delay_alu instid0(VALU_DEP_1) | instskip(SKIP_1) | instid1(VALU_DEP_2)
	v_mul_i32_i24_e32 v52, 24, v87
	v_mul_hi_i32_i24_e32 v53, 24, v87
	v_add_co_u32 v68, vcc_lo, s10, v52
	s_delay_alu instid0(VALU_DEP_2)
	v_add_co_ci_u32_e32 v69, vcc_lo, s11, v53, vcc_lo
	s_clause 0x1
	global_load_b64 v[159:160], v[75:76], off offset:3136
	global_load_b128 v[52:55], v[75:76], off offset:3120
	ds_load_2addr_b64 v[62:65], v199 offset0:64 offset1:224
	v_add_co_u32 v70, vcc_lo, 0x1000, v75
	v_add_co_ci_u32_e32 v71, vcc_lo, 0, v76, vcc_lo
	s_waitcnt vmcnt(0) lgkmcnt(0)
	v_mul_f32_e32 v56, v63, v55
	v_mul_f32_e32 v80, v62, v55
	s_delay_alu instid0(VALU_DEP_2) | instskip(NEXT) | instid1(VALU_DEP_2)
	v_fma_f32 v79, v62, v54, -v56
	v_fmac_f32_e32 v80, v63, v54
	s_clause 0x1
	global_load_b128 v[56:59], v[70:71], off offset:2864
	global_load_b128 v[60:63], v[68:69], off offset:3120
	s_waitcnt vmcnt(1)
	v_mul_f32_e32 v66, v65, v59
	v_mul_f32_e32 v82, v64, v59
	s_delay_alu instid0(VALU_DEP_2) | instskip(NEXT) | instid1(VALU_DEP_2)
	v_fma_f32 v81, v64, v58, -v66
	v_fmac_f32_e32 v82, v65, v58
	ds_load_2addr_b64 v[64:67], v200 offset0:64 offset1:224
	s_waitcnt lgkmcnt(0)
	v_mul_f32_e32 v77, v65, v57
	v_mul_f32_e32 v89, v64, v57
	s_waitcnt vmcnt(0)
	v_mul_f32_e32 v91, v66, v61
	s_delay_alu instid0(VALU_DEP_3) | instskip(NEXT) | instid1(VALU_DEP_3)
	v_fma_f32 v88, v64, v56, -v77
	v_dual_mul_f32 v64, v67, v61 :: v_dual_fmac_f32 v89, v65, v56
	s_delay_alu instid0(VALU_DEP_3) | instskip(NEXT) | instid1(VALU_DEP_2)
	v_fmac_f32_e32 v91, v67, v60
	v_fma_f32 v90, v66, v60, -v64
	v_add_co_u32 v64, vcc_lo, 0x1b30, v75
	v_add_co_ci_u32_e32 v65, vcc_lo, 0, v76, vcc_lo
	s_clause 0x1
	global_load_b64 v[167:168], v[64:65], off offset:16
	global_load_b64 v[165:166], v[68:69], off offset:3136
	v_add_co_u32 v64, vcc_lo, 0x13b0, v75
	v_add_co_ci_u32_e32 v65, vcc_lo, 0, v76, vcc_lo
	v_add_co_u32 v66, vcc_lo, 0x22b0, v75
	v_add_co_ci_u32_e32 v67, vcc_lo, 0, v76, vcc_lo
	s_clause 0x2
	global_load_b64 v[163:164], v[64:65], off offset:16
	global_load_b64 v[161:162], v[66:67], off offset:16
	global_load_b128 v[64:67], v[70:71], off offset:944
	ds_load_2addr_b64 v[68:71], v195 offset1:160
	s_waitcnt vmcnt(4) lgkmcnt(0)
	v_mul_f32_e32 v77, v69, v168
	v_mul_f32_e32 v93, v68, v168
	s_waitcnt vmcnt(3)
	v_mul_f32_e32 v95, v70, v166
	s_delay_alu instid0(VALU_DEP_3) | instskip(NEXT) | instid1(VALU_DEP_3)
	v_fma_f32 v92, v68, v167, -v77
	v_dual_mul_f32 v68, v71, v166 :: v_dual_fmac_f32 v93, v69, v167
	s_delay_alu instid0(VALU_DEP_2) | instskip(NEXT) | instid1(VALU_DEP_2)
	v_dual_fmac_f32 v95, v71, v165 :: v_dual_sub_f32 v92, v88, v92
	v_fma_f32 v94, v70, v165, -v68
	ds_load_2addr_b64 v[68:71], v196 offset1:160
	v_sub_f32_e32 v93, v89, v93
	s_waitcnt lgkmcnt(0)
	v_mul_f32_e32 v77, v69, v63
	v_mul_f32_e32 v97, v68, v63
	s_waitcnt vmcnt(0)
	v_mul_f32_e32 v99, v70, v67
	s_delay_alu instid0(VALU_DEP_3) | instskip(NEXT) | instid1(VALU_DEP_3)
	v_fma_f32 v96, v68, v62, -v77
	v_dual_mul_f32 v68, v71, v67 :: v_dual_fmac_f32 v97, v69, v62
	s_delay_alu instid0(VALU_DEP_3) | instskip(NEXT) | instid1(VALU_DEP_2)
	v_fmac_f32_e32 v99, v71, v66
	v_fma_f32 v98, v70, v66, -v68
	v_add_co_u32 v68, vcc_lo, 0x2000, v75
	v_add_co_ci_u32_e32 v69, vcc_lo, 0, v76, vcc_lo
	ds_load_2addr_b64 v[75:78], v193 offset1:160
	v_cmp_lt_u16_e32 vcc_lo, 0x4f, v74
	v_cndmask_b32_e64 v74, 0, 0x640, vcc_lo
	s_delay_alu instid0(VALU_DEP_1) | instskip(SKIP_3) | instid1(VALU_DEP_2)
	v_add_lshl_u32 v218, v87, v74, 3
	s_waitcnt lgkmcnt(0)
	v_mul_f32_e32 v70, v76, v65
	v_mul_f32_e32 v101, v75, v65
	v_fma_f32 v100, v75, v64, -v70
	global_load_b128 v[68:71], v[68:69], off offset:688
	v_fmac_f32_e32 v101, v76, v64
	s_waitcnt vmcnt(0)
	v_mul_f32_e32 v75, v78, v69
	v_mul_f32_e32 v103, v77, v69
	s_delay_alu instid0(VALU_DEP_2) | instskip(NEXT) | instid1(VALU_DEP_2)
	v_fma_f32 v102, v77, v68, -v75
	v_fmac_f32_e32 v103, v78, v68
	ds_load_2addr_b64 v[75:78], v198 offset0:64 offset1:224
	s_waitcnt lgkmcnt(0)
	v_mul_f32_e32 v83, v78, v160
	v_mul_f32_e32 v84, v77, v160
	;; [unrolled: 1-line block ×3, first 2 shown]
	s_delay_alu instid0(VALU_DEP_3) | instskip(SKIP_1) | instid1(VALU_DEP_4)
	v_fma_f32 v83, v77, v159, -v83
	v_mul_f32_e32 v77, v76, v71
	v_fmac_f32_e32 v84, v78, v159
	s_delay_alu instid0(VALU_DEP_4) | instskip(NEXT) | instid1(VALU_DEP_3)
	v_fmac_f32_e32 v170, v76, v70
	v_fma_f32 v169, v75, v70, -v77
	ds_load_2addr_b64 v[75:78], v197 offset0:64 offset1:224
	s_waitcnt lgkmcnt(0)
	v_mul_f32_e32 v85, v76, v164
	v_mul_f32_e32 v172, v75, v164
	;; [unrolled: 1-line block ×3, first 2 shown]
	s_delay_alu instid0(VALU_DEP_3) | instskip(NEXT) | instid1(VALU_DEP_3)
	v_fma_f32 v171, v75, v163, -v85
	v_dual_mul_f32 v75, v78, v162 :: v_dual_fmac_f32 v172, v76, v163
	s_delay_alu instid0(VALU_DEP_3) | instskip(NEXT) | instid1(VALU_DEP_2)
	v_fmac_f32_e32 v174, v78, v161
	v_fma_f32 v173, v77, v161, -v75
	ds_load_2addr_b64 v[75:78], v192 offset1:160
	v_sub_f32_e32 v87, v103, v174
	s_waitcnt lgkmcnt(0)
	v_dual_sub_f32 v79, v75, v79 :: v_dual_sub_f32 v80, v76, v80
	v_dual_sub_f32 v175, v77, v81 :: v_dual_sub_f32 v176, v78, v82
	s_delay_alu instid0(VALU_DEP_2) | instskip(NEXT) | instid1(VALU_DEP_3)
	v_fma_f32 v177, v75, 2.0, -v79
	v_fma_f32 v178, v76, 2.0, -v80
	s_delay_alu instid0(VALU_DEP_3) | instskip(NEXT) | instid1(VALU_DEP_4)
	v_fma_f32 v179, v77, 2.0, -v175
	v_fma_f32 v180, v78, 2.0, -v176
	ds_load_2addr_b64 v[75:78], v194 offset1:160
	s_waitcnt lgkmcnt(0)
	v_mul_f32_e32 v81, v78, v53
	s_delay_alu instid0(VALU_DEP_1) | instskip(SKIP_1) | instid1(VALU_DEP_1)
	v_fma_f32 v81, v77, v52, -v81
	v_mul_f32_e32 v77, v77, v53
	v_dual_fmac_f32 v77, v78, v52 :: v_dual_sub_f32 v78, v81, v83
	s_delay_alu instid0(VALU_DEP_1) | instskip(NEXT) | instid1(VALU_DEP_2)
	v_sub_f32_e32 v83, v77, v84
	v_fma_f32 v85, v81, 2.0, -v78
	s_delay_alu instid0(VALU_DEP_2) | instskip(SKIP_1) | instid1(VALU_DEP_2)
	v_dual_add_f32 v82, v80, v78 :: v_dual_sub_f32 v81, v79, v83
	v_fma_f32 v77, v77, 2.0, -v83
	v_fma_f32 v84, v80, 2.0, -v82
	s_delay_alu instid0(VALU_DEP_4) | instskip(NEXT) | instid1(VALU_DEP_4)
	v_sub_f32_e32 v85, v177, v85
	v_fma_f32 v83, v79, 2.0, -v81
	s_delay_alu instid0(VALU_DEP_4)
	v_sub_f32_e32 v86, v178, v77
	ds_load_2addr_b64 v[77:80], v201 offset0:64 offset1:224
	s_waitcnt lgkmcnt(0)
	s_barrier
	buffer_gl0_inv
	ds_store_b64 v192, v[83:84] offset:3200
	ds_store_b64 v192, v[81:82] offset:9600
	v_fma_f32 v83, v88, 2.0, -v92
	v_fma_f32 v84, v89, 2.0, -v93
	;; [unrolled: 1-line block ×4, first 2 shown]
	ds_store_b64 v192, v[85:86] offset:6400
	v_dual_sub_f32 v83, v179, v83 :: v_dual_sub_f32 v84, v180, v84
	s_delay_alu instid0(VALU_DEP_1) | instskip(NEXT) | instid1(VALU_DEP_2)
	v_fma_f32 v85, v179, 2.0, -v83
	v_fma_f32 v86, v180, 2.0, -v84
	ds_store_2addr_b64 v192, v[81:82], v[85:86] offset1:160
	v_dual_sub_f32 v85, v79, v98 :: v_dual_sub_f32 v86, v80, v99
	v_dual_sub_f32 v98, v75, v169 :: v_dual_sub_f32 v99, v76, v170
	;; [unrolled: 1-line block ×3, first 2 shown]
	s_delay_alu instid0(VALU_DEP_3) | instskip(NEXT) | instid1(VALU_DEP_3)
	v_fma_f32 v96, v79, 2.0, -v85
	v_fma_f32 v169, v75, 2.0, -v98
	s_delay_alu instid0(VALU_DEP_4) | instskip(SKIP_4) | instid1(VALU_DEP_4)
	v_fma_f32 v170, v76, 2.0, -v99
	v_dual_sub_f32 v75, v175, v93 :: v_dual_add_f32 v76, v176, v92
	v_fma_f32 v88, v77, 2.0, -v81
	v_fma_f32 v89, v78, 2.0, -v82
	;; [unrolled: 1-line block ×5, first 2 shown]
	ds_store_b64 v192, v[77:78] offset:4480
	ds_store_b64 v192, v[83:84] offset:7680
	;; [unrolled: 1-line block ×3, first 2 shown]
	v_dual_sub_f32 v76, v90, v94 :: v_dual_sub_f32 v75, v91, v95
	v_dual_sub_f32 v83, v101, v172 :: v_dual_sub_f32 v84, v102, v173
	s_delay_alu instid0(VALU_DEP_2) | instskip(NEXT) | instid1(VALU_DEP_3)
	v_fma_f32 v77, v90, 2.0, -v76
	v_fma_f32 v78, v91, 2.0, -v75
	v_dual_sub_f32 v75, v81, v75 :: v_dual_add_f32 v76, v82, v76
	s_delay_alu instid0(VALU_DEP_2) | instskip(NEXT) | instid1(VALU_DEP_2)
	v_dual_sub_f32 v77, v88, v77 :: v_dual_sub_f32 v78, v89, v78
	v_fma_f32 v81, v81, 2.0, -v75
	s_delay_alu instid0(VALU_DEP_3) | instskip(NEXT) | instid1(VALU_DEP_3)
	v_fma_f32 v82, v82, 2.0, -v76
	v_fma_f32 v79, v88, 2.0, -v77
	s_delay_alu instid0(VALU_DEP_4)
	v_fma_f32 v80, v89, 2.0, -v78
	ds_store_b64 v218, v[79:80]
	ds_store_b64 v218, v[81:82] offset:3200
	ds_store_b64 v218, v[77:78] offset:6400
	;; [unrolled: 1-line block ×3, first 2 shown]
	v_sub_f32_e32 v82, v100, v171
	v_fma_f32 v75, v101, 2.0, -v83
	v_fma_f32 v76, v102, 2.0, -v84
	;; [unrolled: 1-line block ×3, first 2 shown]
	s_delay_alu instid0(VALU_DEP_4) | instskip(NEXT) | instid1(VALU_DEP_4)
	v_fma_f32 v74, v100, 2.0, -v82
	v_sub_f32_e32 v75, v97, v75
	s_delay_alu instid0(VALU_DEP_3) | instskip(NEXT) | instid1(VALU_DEP_3)
	v_dual_sub_f32 v76, v169, v76 :: v_dual_sub_f32 v77, v170, v77
	v_sub_f32_e32 v74, v96, v74
	s_delay_alu instid0(VALU_DEP_3) | instskip(NEXT) | instid1(VALU_DEP_3)
	v_fma_f32 v79, v97, 2.0, -v75
	v_fma_f32 v80, v169, 2.0, -v76
	s_delay_alu instid0(VALU_DEP_4) | instskip(NEXT) | instid1(VALU_DEP_4)
	v_fma_f32 v81, v170, 2.0, -v77
	v_fma_f32 v78, v96, 2.0, -v74
	ds_store_2addr_b64 v217, v[78:79], v[80:81] offset0:16 offset1:176
	v_dual_sub_f32 v78, v85, v83 :: v_dual_add_f32 v79, v86, v82
	v_dual_sub_f32 v80, v98, v87 :: v_dual_add_f32 v81, v99, v84
	s_delay_alu instid0(VALU_DEP_2) | instskip(NEXT) | instid1(VALU_DEP_3)
	v_fma_f32 v82, v85, 2.0, -v78
	v_fma_f32 v83, v86, 2.0, -v79
	s_delay_alu instid0(VALU_DEP_3) | instskip(NEXT) | instid1(VALU_DEP_4)
	v_fma_f32 v84, v98, 2.0, -v80
	v_fma_f32 v85, v99, 2.0, -v81
	ds_store_2addr_b64 v216, v[82:83], v[84:85] offset0:32 offset1:192
	ds_store_2addr_b64 v219, v[74:75], v[76:77] offset0:48 offset1:208
	;; [unrolled: 1-line block ×3, first 2 shown]
	v_add_co_u32 v80, s8, s10, v192
	s_delay_alu instid0(VALU_DEP_1) | instskip(SKIP_1) | instid1(VALU_DEP_2)
	v_add_co_ci_u32_e64 v81, null, s11, 0, s8
	s_waitcnt lgkmcnt(0)
	v_add_co_u32 v74, vcc_lo, 0x3000, v80
	s_delay_alu instid0(VALU_DEP_2)
	v_add_co_ci_u32_e32 v75, vcc_lo, 0, v81, vcc_lo
	s_barrier
	buffer_gl0_inv
	s_clause 0x2
	global_load_b64 v[169:170], v[74:75], off offset:432
	global_load_b64 v[175:176], v[74:75], off offset:1712
	;; [unrolled: 1-line block ×3, first 2 shown]
	v_add_co_u32 v78, vcc_lo, 0x4000, v80
	v_add_co_ci_u32_e32 v79, vcc_lo, 0, v81, vcc_lo
	ds_load_2addr_b64 v[74:77], v199 offset0:64 offset1:224
	v_add_co_u32 v80, vcc_lo, 0x5000, v80
	global_load_b64 v[173:174], v[78:79], off offset:176
	v_add_co_ci_u32_e32 v81, vcc_lo, 0, v81, vcc_lo
	s_waitcnt vmcnt(3) lgkmcnt(0)
	v_mul_f32_e32 v82, v75, v170
	v_mul_f32_e32 v83, v74, v170
	s_waitcnt vmcnt(2)
	v_mul_f32_e32 v85, v76, v176
	s_delay_alu instid0(VALU_DEP_3) | instskip(NEXT) | instid1(VALU_DEP_3)
	v_fma_f32 v82, v74, v169, -v82
	v_dual_mul_f32 v74, v77, v176 :: v_dual_fmac_f32 v83, v75, v169
	s_delay_alu instid0(VALU_DEP_3) | instskip(NEXT) | instid1(VALU_DEP_2)
	v_fmac_f32_e32 v85, v77, v175
	v_fma_f32 v84, v76, v175, -v74
	ds_load_2addr_b64 v[74:77], v196 offset1:160
	s_clause 0x3
	global_load_b64 v[187:188], v[78:79], off offset:1456
	global_load_b64 v[183:184], v[78:79], off offset:2736
	;; [unrolled: 1-line block ×4, first 2 shown]
	s_waitcnt vmcnt(5) lgkmcnt(0)
	v_mul_f32_e32 v86, v75, v172
	v_mul_f32_e32 v87, v74, v172
	s_waitcnt vmcnt(4)
	v_mul_f32_e32 v89, v76, v174
	s_delay_alu instid0(VALU_DEP_3) | instskip(NEXT) | instid1(VALU_DEP_3)
	v_fma_f32 v86, v74, v171, -v86
	v_dual_mul_f32 v74, v77, v174 :: v_dual_fmac_f32 v87, v75, v171
	s_delay_alu instid0(VALU_DEP_3) | instskip(NEXT) | instid1(VALU_DEP_2)
	v_fmac_f32_e32 v89, v77, v173
	v_fma_f32 v88, v76, v173, -v74
	ds_load_2addr_b64 v[74:77], v198 offset0:64 offset1:224
	s_waitcnt vmcnt(3) lgkmcnt(0)
	v_mul_f32_e32 v78, v75, v188
	v_mul_f32_e32 v95, v74, v188
	s_waitcnt vmcnt(2)
	v_mul_f32_e32 v97, v76, v184
	s_delay_alu instid0(VALU_DEP_3) | instskip(NEXT) | instid1(VALU_DEP_3)
	v_fma_f32 v94, v74, v187, -v78
	v_dual_mul_f32 v74, v77, v184 :: v_dual_fmac_f32 v95, v75, v187
	s_delay_alu instid0(VALU_DEP_3) | instskip(NEXT) | instid1(VALU_DEP_2)
	v_fmac_f32_e32 v97, v77, v183
	v_fma_f32 v96, v76, v183, -v74
	ds_load_2addr_b64 v[74:77], v195 offset1:160
	s_clause 0x1
	global_load_b64 v[185:186], v[80:81], off offset:2480
	global_load_b64 v[181:182], v[80:81], off offset:3760
	s_waitcnt vmcnt(3) lgkmcnt(0)
	v_mul_f32_e32 v78, v75, v180
	v_mul_f32_e32 v103, v74, v180
	s_waitcnt vmcnt(2)
	v_mul_f32_e32 v221, v76, v178
	s_delay_alu instid0(VALU_DEP_3) | instskip(NEXT) | instid1(VALU_DEP_3)
	v_fma_f32 v102, v74, v179, -v78
	v_dual_mul_f32 v74, v77, v178 :: v_dual_fmac_f32 v103, v75, v179
	s_delay_alu instid0(VALU_DEP_3) | instskip(NEXT) | instid1(VALU_DEP_2)
	v_fmac_f32_e32 v221, v77, v177
	v_fma_f32 v220, v76, v177, -v74
	ds_load_2addr_b64 v[74:77], v197 offset0:64 offset1:224
	s_waitcnt vmcnt(1) lgkmcnt(0)
	v_mul_f32_e32 v78, v75, v186
	v_mul_f32_e32 v230, v74, v186
	s_waitcnt vmcnt(0)
	v_mul_f32_e32 v232, v76, v182
	s_delay_alu instid0(VALU_DEP_3) | instskip(SKIP_2) | instid1(VALU_DEP_4)
	v_fma_f32 v222, v74, v185, -v78
	v_mul_f32_e32 v74, v77, v182
	v_fmac_f32_e32 v230, v75, v185
	v_fmac_f32_e32 v232, v77, v181
	s_delay_alu instid0(VALU_DEP_3) | instskip(SKIP_4) | instid1(VALU_DEP_2)
	v_fma_f32 v231, v76, v181, -v74
	ds_load_2addr_b64 v[74:77], v192 offset1:160
	s_waitcnt lgkmcnt(0)
	v_dual_sub_f32 v78, v74, v82 :: v_dual_sub_f32 v79, v75, v83
	v_dual_sub_f32 v80, v76, v84 :: v_dual_sub_f32 v81, v77, v85
	v_fma_f32 v82, v74, 2.0, -v78
	s_delay_alu instid0(VALU_DEP_3) | instskip(NEXT) | instid1(VALU_DEP_3)
	v_fma_f32 v83, v75, 2.0, -v79
	v_fma_f32 v84, v76, 2.0, -v80
	s_delay_alu instid0(VALU_DEP_4) | instskip(SKIP_4) | instid1(VALU_DEP_2)
	v_fma_f32 v85, v77, 2.0, -v81
	ds_load_2addr_b64 v[74:77], v201 offset0:64 offset1:224
	s_waitcnt lgkmcnt(0)
	v_dual_sub_f32 v86, v74, v86 :: v_dual_sub_f32 v87, v75, v87
	v_dual_sub_f32 v88, v76, v88 :: v_dual_sub_f32 v89, v77, v89
	v_fma_f32 v90, v74, 2.0, -v86
	s_delay_alu instid0(VALU_DEP_3) | instskip(NEXT) | instid1(VALU_DEP_3)
	v_fma_f32 v91, v75, 2.0, -v87
	v_fma_f32 v92, v76, 2.0, -v88
	s_delay_alu instid0(VALU_DEP_4) | instskip(SKIP_4) | instid1(VALU_DEP_2)
	v_fma_f32 v93, v77, 2.0, -v89
	ds_load_2addr_b64 v[74:77], v194 offset1:160
	s_waitcnt lgkmcnt(0)
	v_dual_sub_f32 v94, v74, v94 :: v_dual_sub_f32 v95, v75, v95
	v_dual_sub_f32 v96, v76, v96 :: v_dual_sub_f32 v97, v77, v97
	v_fma_f32 v98, v74, 2.0, -v94
	s_delay_alu instid0(VALU_DEP_3) | instskip(NEXT) | instid1(VALU_DEP_3)
	v_fma_f32 v99, v75, 2.0, -v95
	v_fma_f32 v100, v76, 2.0, -v96
	s_delay_alu instid0(VALU_DEP_4)
	v_fma_f32 v101, v77, 2.0, -v97
	ds_load_2addr_b64 v[74:77], v200 offset0:64 offset1:224
	s_waitcnt lgkmcnt(0)
	v_dual_sub_f32 v102, v74, v102 :: v_dual_sub_f32 v103, v75, v103
	v_dual_sub_f32 v223, v76, v220 :: v_dual_sub_f32 v224, v77, v221
	v_add_nc_u32_e32 v221, 0x4a00, v192
	s_delay_alu instid0(VALU_DEP_3) | instskip(NEXT) | instid1(VALU_DEP_4)
	v_fma_f32 v225, v74, 2.0, -v102
	v_fma_f32 v226, v75, 2.0, -v103
	s_delay_alu instid0(VALU_DEP_4)
	v_fma_f32 v227, v76, 2.0, -v223
	v_fma_f32 v228, v77, 2.0, -v224
	ds_load_2addr_b64 v[74:77], v193 offset1:160
	v_add_nc_u32_e32 v220, 0x5400, v192
	ds_store_b64 v192, v[78:79] offset:12800
	ds_store_2addr_b64 v192, v[82:83], v[84:85] offset1:160
	s_waitcnt lgkmcnt(2)
	v_sub_f32_e32 v229, v74, v222
	v_dual_sub_f32 v230, v75, v230 :: v_dual_sub_f32 v231, v76, v231
	v_sub_f32_e32 v232, v77, v232
	v_add_nc_u32_e32 v222, 0x3600, v192
	s_delay_alu instid0(VALU_DEP_4) | instskip(NEXT) | instid1(VALU_DEP_4)
	v_fma_f32 v74, v74, 2.0, -v229
	v_fma_f32 v75, v75, 2.0, -v230
	v_fma_f32 v76, v76, 2.0, -v231
	v_fma_f32 v77, v77, 2.0, -v232
	ds_store_2addr_b64 v222, v[80:81], v[86:87] offset0:32 offset1:192
	ds_store_2addr_b64 v201, v[90:91], v[92:93] offset0:64 offset1:224
	;; [unrolled: 1-line block ×3, first 2 shown]
	ds_store_2addr_b64 v194, v[98:99], v[100:101] offset1:160
	ds_store_2addr_b64 v221, v[96:97], v[102:103] offset0:32 offset1:192
	ds_store_2addr_b64 v200, v[225:226], v[227:228] offset0:64 offset1:224
	;; [unrolled: 1-line block ×3, first 2 shown]
	ds_store_2addr_b64 v193, v[74:75], v[76:77] offset1:160
	ds_store_b64 v192, v[231:232] offset:24320
	s_waitcnt lgkmcnt(0)
	s_barrier
	buffer_gl0_inv
	s_clause 0x3
	global_load_b64 v[78:79], v192, s[2:3]
	global_load_b64 v[80:81], v192, s[2:3] offset:1280
	global_load_b64 v[82:83], v192, s[2:3] offset:2560
	;; [unrolled: 1-line block ×3, first 2 shown]
	ds_load_2addr_b64 v[74:77], v192 offset1:160
	v_add_co_u32 v227, s8, s2, v192
	s_delay_alu instid0(VALU_DEP_1)
	v_add_co_ci_u32_e64 v228, null, s3, 0, s8
	s_waitcnt vmcnt(3) lgkmcnt(0)
	v_mul_f32_e32 v86, v75, v79
	v_mul_f32_e32 v87, v74, v79
	s_waitcnt vmcnt(2)
	v_mul_f32_e32 v79, v76, v81
	s_delay_alu instid0(VALU_DEP_3) | instskip(NEXT) | instid1(VALU_DEP_3)
	v_fma_f32 v86, v74, v78, -v86
	v_dual_fmac_f32 v87, v75, v78 :: v_dual_mul_f32 v74, v77, v81
	s_delay_alu instid0(VALU_DEP_3)
	v_fmac_f32_e32 v79, v77, v80
	ds_store_b64 v192, v[86:87]
	v_fma_f32 v78, v76, v80, -v74
	ds_load_2addr_b64 v[74:77], v201 offset0:64 offset1:224
	s_waitcnt vmcnt(1) lgkmcnt(0)
	v_mul_f32_e32 v80, v75, v83
	v_mul_f32_e32 v81, v74, v83
	s_waitcnt vmcnt(0)
	v_mul_f32_e32 v83, v76, v85
	s_delay_alu instid0(VALU_DEP_3) | instskip(NEXT) | instid1(VALU_DEP_3)
	v_fma_f32 v80, v74, v82, -v80
	v_dual_mul_f32 v74, v77, v85 :: v_dual_fmac_f32 v81, v75, v82
	s_delay_alu instid0(VALU_DEP_3) | instskip(NEXT) | instid1(VALU_DEP_2)
	v_fmac_f32_e32 v83, v77, v84
	v_fma_f32 v82, v76, v84, -v74
	v_add_co_u32 v84, vcc_lo, 0x1000, v227
	v_add_co_ci_u32_e32 v85, vcc_lo, 0, v228, vcc_lo
	s_clause 0x3
	global_load_b64 v[86:87], v[84:85], off offset:2304
	global_load_b64 v[88:89], v73, s[2:3]
	global_load_b64 v[90:91], v[84:85], off offset:1024
	global_load_b64 v[84:85], v[84:85], off offset:3584
	ds_load_2addr_b64 v[73:76], v194 offset1:160
	s_waitcnt vmcnt(1) lgkmcnt(0)
	v_mul_f32_e32 v77, v74, v91
	v_mul_f32_e32 v93, v73, v91
	;; [unrolled: 1-line block ×3, first 2 shown]
	s_delay_alu instid0(VALU_DEP_3) | instskip(SKIP_1) | instid1(VALU_DEP_4)
	v_fma_f32 v92, v73, v90, -v77
	v_mul_f32_e32 v73, v76, v87
	v_fmac_f32_e32 v93, v74, v90
	s_delay_alu instid0(VALU_DEP_4) | instskip(NEXT) | instid1(VALU_DEP_3)
	v_fmac_f32_e32 v91, v76, v86
	v_fma_f32 v90, v75, v86, -v73
	v_add_co_u32 v73, vcc_lo, 0x3000, v227
	v_add_co_ci_u32_e32 v74, vcc_lo, 0, v228, vcc_lo
	s_clause 0x2
	global_load_b64 v[86:87], v[73:74], off offset:512
	global_load_b64 v[94:95], v[73:74], off offset:1792
	;; [unrolled: 1-line block ×3, first 2 shown]
	ds_load_2addr_b64 v[73:76], v200 offset0:64 offset1:224
	s_waitcnt vmcnt(3) lgkmcnt(0)
	v_mul_f32_e32 v77, v74, v85
	v_mul_f32_e32 v99, v73, v85
	s_delay_alu instid0(VALU_DEP_2) | instskip(SKIP_1) | instid1(VALU_DEP_3)
	v_fma_f32 v98, v73, v84, -v77
	v_add_co_u32 v73, vcc_lo, 0x2000, v227
	v_fmac_f32_e32 v99, v74, v84
	v_add_co_ci_u32_e32 v74, vcc_lo, 0, v228, vcc_lo
	v_add_co_u32 v84, vcc_lo, 0x5000, v227
	v_add_co_ci_u32_e32 v85, vcc_lo, 0, v228, vcc_lo
	s_clause 0x2
	global_load_b64 v[100:101], v[73:74], off offset:768
	global_load_b64 v[102:103], v[73:74], off offset:3328
	;; [unrolled: 1-line block ×3, first 2 shown]
	s_waitcnt vmcnt(2)
	v_mul_f32_e32 v226, v75, v101
	v_mul_f32_e32 v73, v76, v101
	s_delay_alu instid0(VALU_DEP_2)
	v_fmac_f32_e32 v226, v76, v100
	global_load_b64 v[76:77], v72, s[2:3]
	v_fma_f32 v225, v75, v100, -v73
	ds_load_2addr_b64 v[72:75], v193 offset1:160
	s_mov_b32 s2, 0x47ae147b
	s_mov_b32 s3, 0x3f347ae1
	s_waitcnt vmcnt(0) lgkmcnt(0)
	v_mul_f32_e32 v100, v73, v77
	v_mul_f32_e32 v101, v72, v77
	v_mul_f32_e32 v77, v74, v103
	s_delay_alu instid0(VALU_DEP_3) | instskip(NEXT) | instid1(VALU_DEP_3)
	v_fma_f32 v100, v72, v76, -v100
	v_dual_mul_f32 v72, v75, v103 :: v_dual_fmac_f32 v101, v73, v76
	s_delay_alu instid0(VALU_DEP_3) | instskip(NEXT) | instid1(VALU_DEP_2)
	v_fmac_f32_e32 v77, v75, v102
	v_fma_f32 v76, v74, v102, -v72
	ds_load_2addr_b64 v[72:75], v199 offset0:64 offset1:224
	s_waitcnt lgkmcnt(0)
	v_mul_f32_e32 v102, v73, v87
	v_mul_f32_e32 v103, v72, v87
	;; [unrolled: 1-line block ×3, first 2 shown]
	s_delay_alu instid0(VALU_DEP_3) | instskip(NEXT) | instid1(VALU_DEP_3)
	v_fma_f32 v102, v72, v86, -v102
	v_dual_mul_f32 v72, v75, v95 :: v_dual_fmac_f32 v103, v73, v86
	s_delay_alu instid0(VALU_DEP_3) | instskip(NEXT) | instid1(VALU_DEP_2)
	v_fmac_f32_e32 v87, v75, v94
	v_fma_f32 v86, v74, v94, -v72
	ds_load_2addr_b64 v[72:75], v196 offset1:160
	s_waitcnt lgkmcnt(0)
	v_mul_f32_e32 v94, v73, v97
	v_mul_f32_e32 v95, v72, v97
	s_delay_alu instid0(VALU_DEP_2) | instskip(SKIP_1) | instid1(VALU_DEP_3)
	v_fma_f32 v94, v72, v96, -v94
	v_add_co_u32 v72, vcc_lo, 0x4000, v227
	v_fmac_f32_e32 v95, v73, v96
	v_add_co_ci_u32_e32 v73, vcc_lo, 0, v228, vcc_lo
	s_clause 0x4
	global_load_b64 v[96:97], v[72:73], off offset:256
	global_load_b64 v[227:228], v[72:73], off offset:1536
	;; [unrolled: 1-line block ×5, first 2 shown]
	s_waitcnt vmcnt(4)
	v_mul_f32_e32 v72, v75, v97
	v_mul_f32_e32 v234, v74, v97
	s_delay_alu instid0(VALU_DEP_2) | instskip(NEXT) | instid1(VALU_DEP_2)
	v_fma_f32 v233, v74, v96, -v72
	v_fmac_f32_e32 v234, v75, v96
	ds_load_2addr_b64 v[72:75], v198 offset0:64 offset1:224
	s_waitcnt vmcnt(3) lgkmcnt(0)
	v_mul_f32_e32 v96, v73, v228
	s_waitcnt vmcnt(2)
	v_dual_mul_f32 v97, v72, v228 :: v_dual_mul_f32 v228, v74, v230
	s_delay_alu instid0(VALU_DEP_2) | instskip(NEXT) | instid1(VALU_DEP_2)
	v_fma_f32 v96, v72, v227, -v96
	v_dual_mul_f32 v72, v75, v230 :: v_dual_fmac_f32 v97, v73, v227
	s_delay_alu instid0(VALU_DEP_3) | instskip(NEXT) | instid1(VALU_DEP_2)
	v_fmac_f32_e32 v228, v75, v229
	v_fma_f32 v227, v74, v229, -v72
	ds_load_2addr_b64 v[72:75], v195 offset1:160
	s_waitcnt lgkmcnt(0)
	v_mul_f32_e32 v229, v73, v89
	s_waitcnt vmcnt(1)
	v_dual_mul_f32 v230, v72, v89 :: v_dual_mul_f32 v89, v74, v232
	s_delay_alu instid0(VALU_DEP_2) | instskip(SKIP_1) | instid1(VALU_DEP_3)
	v_fma_f32 v229, v72, v88, -v229
	v_mul_f32_e32 v72, v75, v232
	v_dual_fmac_f32 v230, v73, v88 :: v_dual_fmac_f32 v89, v75, v231
	s_delay_alu instid0(VALU_DEP_2) | instskip(SKIP_4) | instid1(VALU_DEP_2)
	v_fma_f32 v88, v74, v231, -v72
	ds_load_2addr_b64 v[72:75], v197 offset0:64 offset1:224
	s_waitcnt vmcnt(0) lgkmcnt(0)
	v_mul_f32_e32 v231, v73, v85
	v_mul_f32_e32 v232, v72, v85
	v_fma_f32 v231, v72, v84, -v231
	v_mul_f32_e32 v72, v75, v224
	s_delay_alu instid0(VALU_DEP_3) | instskip(SKIP_1) | instid1(VALU_DEP_3)
	v_fmac_f32_e32 v232, v73, v84
	v_mul_f32_e32 v73, v74, v224
	v_fma_f32 v72, v74, v223, -v72
	s_delay_alu instid0(VALU_DEP_2)
	v_dual_fmac_f32 v73, v75, v223 :: v_dual_add_nc_u32 v74, 0x400, v192
	ds_store_2addr_b64 v74, v[78:79], v[80:81] offset0:32 offset1:192
	v_add_nc_u32_e32 v74, 0xe00, v192
	ds_store_2addr_b64 v74, v[82:83], v[92:93] offset0:32 offset1:192
	v_add_nc_u32_e32 v74, 0x1800, v192
	;; [unrolled: 2-line block ×4, first 2 shown]
	ds_store_2addr_b64 v74, v[76:77], v[102:103] offset0:32 offset1:192
	ds_store_2addr_b64 v222, v[86:87], v[94:95] offset0:32 offset1:192
	;; [unrolled: 1-line block ×5, first 2 shown]
	ds_store_b64 v192, v[72:73] offset:24320
	s_waitcnt lgkmcnt(0)
	s_barrier
	buffer_gl0_inv
	ds_load_2addr_b64 v[72:75], v194 offset1:160
	ds_load_2addr_b64 v[76:79], v193 offset1:160
	;; [unrolled: 1-line block ×4, first 2 shown]
	s_waitcnt lgkmcnt(2)
	v_sub_f32_e32 v88, v72, v76
	s_waitcnt lgkmcnt(0)
	v_dual_sub_f32 v89, v80, v84 :: v_dual_sub_f32 v244, v77, v85
	v_sub_f32_e32 v228, v84, v80
	v_dual_add_f32 v233, v72, v80 :: v_dual_sub_f32 v246, v73, v81
	s_delay_alu instid0(VALU_DEP_3) | instskip(SKIP_3) | instid1(VALU_DEP_2)
	v_add_f32_e32 v223, v88, v89
	v_sub_f32_e32 v88, v73, v77
	v_dual_sub_f32 v89, v81, v85 :: v_dual_sub_f32 v248, v76, v84
	v_sub_f32_e32 v250, v72, v80
	v_add_f32_e32 v224, v88, v89
	ds_load_2addr_b64 v[88:91], v200 offset0:64 offset1:224
	ds_load_2addr_b64 v[92:95], v199 offset0:64 offset1:224
	;; [unrolled: 1-line block ×4, first 2 shown]
	s_waitcnt lgkmcnt(2)
	v_sub_f32_e32 v225, v88, v92
	s_waitcnt lgkmcnt(0)
	v_dual_sub_f32 v226, v96, v100 :: v_dual_sub_f32 v227, v97, v101
	v_sub_f32_e32 v252, v89, v97
	v_dual_sub_f32 v254, v88, v96 :: v_dual_sub_f32 v251, v93, v101
	s_delay_alu instid0(VALU_DEP_3) | instskip(SKIP_1) | instid1(VALU_DEP_1)
	v_add_f32_e32 v225, v225, v226
	v_dual_sub_f32 v226, v89, v93 :: v_dual_sub_f32 v253, v92, v100
	v_dual_add_f32 v226, v226, v227 :: v_dual_sub_f32 v227, v76, v72
	s_delay_alu instid0(VALU_DEP_1) | instskip(SKIP_2) | instid1(VALU_DEP_1)
	v_add_f32_e32 v231, v227, v228
	v_sub_f32_e32 v227, v77, v73
	v_sub_f32_e32 v228, v85, v81
	v_add_f32_e32 v232, v227, v228
	v_sub_f32_e32 v227, v92, v88
	v_sub_f32_e32 v228, v100, v96
	s_delay_alu instid0(VALU_DEP_1) | instskip(SKIP_2) | instid1(VALU_DEP_1)
	v_add_f32_e32 v235, v227, v228
	v_sub_f32_e32 v227, v93, v89
	v_sub_f32_e32 v228, v101, v97
	v_add_f32_e32 v236, v227, v228
	ds_load_2addr_b64 v[227:230], v192 offset1:160
	s_waitcnt lgkmcnt(0)
	v_fma_f32 v243, -0.5, v233, v227
	s_delay_alu instid0(VALU_DEP_1) | instskip(SKIP_1) | instid1(VALU_DEP_2)
	v_dual_add_f32 v72, v227, v72 :: v_dual_fmamk_f32 v245, v244, 0x3f737871, v243
	v_fmac_f32_e32 v243, 0xbf737871, v244
	v_add_f32_e32 v72, v72, v76
	s_delay_alu instid0(VALU_DEP_3) | instskip(NEXT) | instid1(VALU_DEP_2)
	v_dual_add_f32 v76, v76, v84 :: v_dual_fmac_f32 v245, 0xbf167918, v246
	v_dual_fmac_f32 v243, 0x3f167918, v246 :: v_dual_add_f32 v72, v72, v84
	s_delay_alu instid0(VALU_DEP_2) | instskip(NEXT) | instid1(VALU_DEP_3)
	v_fma_f32 v76, -0.5, v76, v227
	v_fmac_f32_e32 v245, 0x3e9e377a, v231
	s_delay_alu instid0(VALU_DEP_3)
	v_fmac_f32_e32 v243, 0x3e9e377a, v231
	v_add_f32_e32 v231, v73, v81
	v_add_f32_e32 v73, v228, v73
	;; [unrolled: 1-line block ×3, first 2 shown]
	v_fmamk_f32 v80, v246, 0xbf737871, v76
	v_fmac_f32_e32 v76, 0x3f737871, v246
	v_fma_f32 v247, -0.5, v231, v228
	v_add_f32_e32 v73, v73, v77
	s_delay_alu instid0(VALU_DEP_4) | instskip(NEXT) | instid1(VALU_DEP_4)
	v_dual_add_f32 v77, v77, v85 :: v_dual_fmac_f32 v80, 0xbf167918, v244
	v_fmac_f32_e32 v76, 0x3f167918, v244
	s_delay_alu instid0(VALU_DEP_4) | instskip(SKIP_3) | instid1(VALU_DEP_4)
	v_fmamk_f32 v249, v248, 0xbf737871, v247
	v_fmac_f32_e32 v247, 0x3f737871, v248
	v_add_f32_e32 v73, v73, v85
	v_fma_f32 v77, -0.5, v77, v228
	v_fmac_f32_e32 v249, 0x3f167918, v250
	s_delay_alu instid0(VALU_DEP_4) | instskip(NEXT) | instid1(VALU_DEP_4)
	v_fmac_f32_e32 v247, 0xbf167918, v250
	v_add_f32_e32 v73, v73, v81
	s_delay_alu instid0(VALU_DEP_3) | instskip(NEXT) | instid1(VALU_DEP_3)
	v_fmac_f32_e32 v249, 0x3e9e377a, v232
	v_fmac_f32_e32 v247, 0x3e9e377a, v232
	ds_load_2addr_b64 v[231:234], v201 offset0:64 offset1:224
	v_add_f32_e32 v237, v88, v96
	s_waitcnt lgkmcnt(0)
	s_barrier
	buffer_gl0_inv
	v_add_f32_e32 v88, v231, v88
	v_fma_f32 v237, -0.5, v237, v231
	s_delay_alu instid0(VALU_DEP_2) | instskip(NEXT) | instid1(VALU_DEP_2)
	v_add_f32_e32 v88, v88, v92
	v_fmamk_f32 v238, v251, 0x3f737871, v237
	s_delay_alu instid0(VALU_DEP_2) | instskip(NEXT) | instid1(VALU_DEP_2)
	v_dual_fmac_f32 v237, 0xbf737871, v251 :: v_dual_add_f32 v84, v88, v100
	v_fmac_f32_e32 v238, 0xbf167918, v252
	v_fmamk_f32 v88, v250, 0x3f737871, v77
	v_fmac_f32_e32 v77, 0xbf737871, v250
	s_delay_alu instid0(VALU_DEP_4) | instskip(SKIP_2) | instid1(VALU_DEP_3)
	v_dual_add_f32 v81, v84, v96 :: v_dual_add_f32 v96, v94, v102
	v_fmac_f32_e32 v237, 0x3f167918, v252
	v_fmac_f32_e32 v238, 0x3e9e377a, v235
	v_dual_fmac_f32 v88, 0x3f167918, v248 :: v_dual_sub_f32 v227, v72, v81
	s_delay_alu instid0(VALU_DEP_3) | instskip(SKIP_1) | instid1(VALU_DEP_3)
	v_fmac_f32_e32 v237, 0x3e9e377a, v235
	v_add_f32_e32 v235, v89, v97
	v_dual_add_f32 v89, v232, v89 :: v_dual_fmac_f32 v88, 0x3e9e377a, v224
	s_delay_alu instid0(VALU_DEP_2) | instskip(NEXT) | instid1(VALU_DEP_2)
	v_fma_f32 v235, -0.5, v235, v232
	v_add_f32_e32 v89, v89, v93
	s_delay_alu instid0(VALU_DEP_2) | instskip(SKIP_1) | instid1(VALU_DEP_3)
	v_fmamk_f32 v239, v253, 0xbf737871, v235
	v_fmac_f32_e32 v235, 0x3f737871, v253
	v_add_f32_e32 v85, v89, v101
	v_add_f32_e32 v89, v74, v82
	s_delay_alu instid0(VALU_DEP_4) | instskip(NEXT) | instid1(VALU_DEP_3)
	v_fmac_f32_e32 v239, 0x3f167918, v254
	v_dual_fmac_f32 v235, 0xbf167918, v254 :: v_dual_add_f32 v84, v85, v97
	v_sub_f32_e32 v97, v95, v103
	v_fmac_f32_e32 v77, 0xbf167918, v248
	s_delay_alu instid0(VALU_DEP_4) | instskip(NEXT) | instid1(VALU_DEP_4)
	v_fmac_f32_e32 v239, 0x3e9e377a, v236
	v_dual_fmac_f32 v235, 0x3e9e377a, v236 :: v_dual_add_f32 v236, v93, v101
	v_sub_f32_e32 v228, v73, v84
	s_delay_alu instid0(VALU_DEP_4) | instskip(NEXT) | instid1(VALU_DEP_4)
	v_fmac_f32_e32 v77, 0x3e9e377a, v224
	v_mul_f32_e32 v209, 0xbf737871, v239
	v_mul_f32_e32 v210, 0x3e9e377a, v239
	v_fma_f32 v255, -0.5, v236, v232
	v_add_f32_e32 v236, v92, v100
	v_mul_f32_e32 v212, 0xbe9e377a, v235
	v_sub_f32_e32 v92, v74, v82
	v_dual_sub_f32 v100, v90, v94 :: v_dual_mul_f32 v211, 0xbf737871, v235
	s_delay_alu instid0(VALU_DEP_4)
	v_fma_f32 v104, -0.5, v236, v231
	v_fmamk_f32 v236, v254, 0x3f737871, v255
	v_fmac_f32_e32 v255, 0xbf737871, v254
	v_add_f32_e32 v235, v72, v81
	v_fmac_f32_e32 v209, 0x3e9e377a, v238
	v_fmamk_f32 v240, v252, 0xbf737871, v104
	v_fmac_f32_e32 v236, 0x3f167918, v253
	v_fmac_f32_e32 v104, 0x3f737871, v252
	;; [unrolled: 1-line block ×10, first 2 shown]
	v_mul_f32_e32 v207, 0xbf167918, v236
	v_fmac_f32_e32 v104, 0x3e9e377a, v225
	v_mul_f32_e32 v72, 0xbf167918, v255
	v_fmac_f32_e32 v212, 0x3f737871, v237
	v_mul_f32_e32 v208, 0x3f167918, v240
	v_fmac_f32_e32 v207, 0x3f4f1bbd, v240
	s_delay_alu instid0(VALU_DEP_4) | instskip(NEXT) | instid1(VALU_DEP_3)
	v_dual_sub_f32 v85, v78, v86 :: v_dual_fmac_f32 v72, 0xbf4f1bbd, v104
	v_dual_add_f32 v239, v245, v209 :: v_dual_fmac_f32 v208, 0x3f4f1bbd, v236
	v_dual_add_f32 v236, v73, v84 :: v_dual_mul_f32 v73, 0xbf4f1bbd, v255
	v_fmac_f32_e32 v80, 0x3e9e377a, v223
	v_fmac_f32_e32 v76, 0x3e9e377a, v223
	s_delay_alu instid0(VALU_DEP_4) | instskip(NEXT) | instid1(VALU_DEP_4)
	v_add_f32_e32 v238, v88, v208
	v_dual_add_f32 v240, v249, v210 :: v_dual_fmac_f32 v73, 0x3f167918, v104
	v_add_f32_e32 v104, v95, v103
	v_dual_add_f32 v237, v80, v207 :: v_dual_add_f32 v242, v247, v212
	s_delay_alu instid0(VALU_DEP_3) | instskip(NEXT) | instid1(VALU_DEP_3)
	v_dual_add_f32 v225, v76, v72 :: v_dual_add_f32 v226, v77, v73
	v_fma_f32 v104, -0.5, v104, v234
	v_add_f32_e32 v241, v243, v211
	ds_store_b128 v204, v[235:238]
	ds_store_b128 v204, v[239:242] offset:16
	v_sub_f32_e32 v235, v80, v207
	v_dual_sub_f32 v237, v245, v209 :: v_dual_sub_f32 v236, v88, v208
	v_sub_f32_e32 v238, v249, v210
	ds_store_b128 v204, v[225:228] offset:32
	ds_store_b128 v204, v[235:238] offset:48
	v_dual_sub_f32 v225, v76, v72 :: v_dual_add_f32 v72, v229, v74
	v_dual_sub_f32 v226, v77, v73 :: v_dual_add_f32 v73, v230, v75
	v_add_f32_e32 v76, v78, v86
	v_sub_f32_e32 v80, v79, v87
	s_delay_alu instid0(VALU_DEP_4) | instskip(SKIP_3) | instid1(VALU_DEP_4)
	v_add_f32_e32 v72, v72, v78
	v_sub_f32_e32 v77, v74, v78
	v_add_f32_e32 v73, v73, v79
	v_dual_sub_f32 v81, v78, v74 :: v_dual_add_f32 v84, v79, v87
	v_add_f32_e32 v72, v72, v86
	v_sub_f32_e32 v78, v75, v79
	v_sub_f32_e32 v79, v79, v75
	;; [unrolled: 1-line block ×3, first 2 shown]
	v_dual_add_f32 v74, v75, v83 :: v_dual_sub_f32 v75, v82, v86
	v_sub_f32_e32 v86, v86, v82
	v_add_f32_e32 v82, v72, v82
	v_add_f32_e32 v72, v233, v90
	v_sub_f32_e32 v101, v94, v90
	v_add_f32_e32 v208, v90, v98
	v_dual_sub_f32 v90, v90, v98 :: v_dual_add_f32 v73, v73, v87
	v_dual_sub_f32 v209, v98, v102 :: v_dual_sub_f32 v224, v247, v212
	v_add_f32_e32 v72, v72, v94
	v_dual_sub_f32 v94, v94, v102 :: v_dual_sub_f32 v93, v83, v87
	v_sub_f32_e32 v87, v87, v83
	v_add_f32_e32 v83, v73, v83
	v_dual_add_f32 v73, v234, v91 :: v_dual_add_f32 v100, v100, v209
	v_fma_f32 v209, -0.5, v76, v229
	v_sub_f32_e32 v223, v243, v211
	v_sub_f32_e32 v207, v91, v99
	s_delay_alu instid0(VALU_DEP_4)
	v_dual_add_f32 v73, v73, v95 :: v_dual_add_f32 v72, v72, v102
	v_sub_f32_e32 v210, v99, v103
	ds_store_b128 v204, v[223:226] offset:64
	v_sub_f32_e32 v204, v91, v95
	v_sub_f32_e32 v95, v95, v91
	v_add_f32_e32 v91, v91, v99
	v_add_f32_e32 v73, v73, v103
	v_dual_sub_f32 v103, v103, v99 :: v_dual_sub_f32 v102, v102, v98
	v_add_f32_e32 v98, v72, v98
	s_delay_alu instid0(VALU_DEP_4) | instskip(NEXT) | instid1(VALU_DEP_4)
	v_fmac_f32_e32 v234, -0.5, v91
	v_add_f32_e32 v99, v73, v99
	s_delay_alu instid0(VALU_DEP_4)
	v_add_f32_e32 v72, v95, v103
	v_add_f32_e32 v204, v204, v210
	v_fma_f32 v95, -0.5, v208, v233
	v_fmamk_f32 v73, v94, 0xbf737871, v234
	v_fmac_f32_e32 v234, 0x3f737871, v94
	v_fma_f32 v91, -0.5, v96, v233
	v_fmamk_f32 v210, v88, 0xbf737871, v209
	v_fmac_f32_e32 v209, 0x3f737871, v88
	v_fmac_f32_e32 v73, 0x3f167918, v90
	;; [unrolled: 1-line block ×3, first 2 shown]
	s_delay_alu instid0(VALU_DEP_4) | instskip(NEXT) | instid1(VALU_DEP_4)
	v_fmac_f32_e32 v210, 0xbf167918, v80
	v_fmac_f32_e32 v209, 0x3f167918, v80
	s_delay_alu instid0(VALU_DEP_4) | instskip(NEXT) | instid1(VALU_DEP_4)
	v_fmac_f32_e32 v73, 0x3e9e377a, v72
	v_fmac_f32_e32 v234, 0x3e9e377a, v72
	v_fmamk_f32 v72, v90, 0x3f737871, v104
	v_fmac_f32_e32 v104, 0xbf737871, v90
	s_delay_alu instid0(VALU_DEP_3) | instskip(NEXT) | instid1(VALU_DEP_3)
	v_mul_f32_e32 v96, 0xbf737871, v234
	v_fmac_f32_e32 v72, 0x3f167918, v94
	s_delay_alu instid0(VALU_DEP_3) | instskip(NEXT) | instid1(VALU_DEP_2)
	v_dual_fmac_f32 v104, 0xbf167918, v94 :: v_dual_add_f32 v93, v78, v93
	v_fmac_f32_e32 v72, 0x3e9e377a, v204
	s_delay_alu instid0(VALU_DEP_2)
	v_fmac_f32_e32 v104, 0x3e9e377a, v204
	v_add_f32_e32 v208, v77, v75
	v_add_f32_e32 v75, v81, v86
	v_fma_f32 v81, -0.5, v84, v230
	v_fmac_f32_e32 v230, -0.5, v74
	v_fma_f32 v84, -0.5, v89, v229
	v_dual_add_f32 v74, v79, v87 :: v_dual_add_f32 v77, v101, v102
	s_delay_alu instid0(VALU_DEP_4) | instskip(NEXT) | instid1(VALU_DEP_4)
	v_fmamk_f32 v211, v92, 0x3f737871, v81
	v_fmamk_f32 v87, v85, 0xbf737871, v230
	v_fmac_f32_e32 v230, 0x3f737871, v85
	v_fmamk_f32 v86, v80, 0x3f737871, v84
	v_fmac_f32_e32 v84, 0xbf737871, v80
	v_mul_f32_e32 v89, 0xbf167918, v72
	v_fmac_f32_e32 v87, 0x3f167918, v92
	v_fmac_f32_e32 v230, 0xbf167918, v92
	;; [unrolled: 1-line block ×3, first 2 shown]
	v_dual_fmac_f32 v84, 0x3f167918, v88 :: v_dual_fmac_f32 v211, 0x3f167918, v85
	s_delay_alu instid0(VALU_DEP_4) | instskip(NEXT) | instid1(VALU_DEP_4)
	v_fmac_f32_e32 v87, 0x3e9e377a, v74
	v_fmac_f32_e32 v230, 0x3e9e377a, v74
	v_fmamk_f32 v74, v207, 0xbf737871, v91
	v_fmac_f32_e32 v86, 0x3e9e377a, v75
	v_fmac_f32_e32 v84, 0x3e9e377a, v75
	v_fmamk_f32 v75, v97, 0x3f737871, v95
	v_fmac_f32_e32 v95, 0xbf737871, v97
	v_fmac_f32_e32 v74, 0xbf167918, v97
	v_mul_f32_e32 v103, 0xbe9e377a, v234
	v_mul_f32_e32 v102, 0x3e9e377a, v73
	v_fmac_f32_e32 v75, 0xbf167918, v207
	v_fmac_f32_e32 v95, 0x3f167918, v207
	;; [unrolled: 1-line block ×3, first 2 shown]
	v_dual_fmac_f32 v210, 0x3e9e377a, v208 :: v_dual_fmac_f32 v211, 0x3e9e377a, v93
	s_delay_alu instid0(VALU_DEP_4) | instskip(NEXT) | instid1(VALU_DEP_4)
	v_fmac_f32_e32 v75, 0x3e9e377a, v77
	v_fmac_f32_e32 v95, 0x3e9e377a, v77
	s_delay_alu instid0(VALU_DEP_4)
	v_mul_f32_e32 v101, 0x3f167918, v74
	v_fmac_f32_e32 v89, 0x3f4f1bbd, v74
	v_fmac_f32_e32 v91, 0x3f737871, v207
	;; [unrolled: 1-line block ×5, first 2 shown]
	v_mul_f32_e32 v95, 0xbf737871, v73
	v_dual_fmac_f32 v101, 0x3f4f1bbd, v72 :: v_dual_add_f32 v72, v82, v98
	v_dual_add_f32 v73, v83, v99 :: v_dual_add_f32 v74, v210, v89
	s_delay_alu instid0(VALU_DEP_3) | instskip(NEXT) | instid1(VALU_DEP_3)
	v_fmac_f32_e32 v95, 0x3e9e377a, v75
	v_add_f32_e32 v75, v211, v101
	v_fmac_f32_e32 v81, 0xbf737871, v92
	v_fmac_f32_e32 v91, 0x3f167918, v97
	v_add_f32_e32 v79, v230, v103
	v_add_f32_e32 v76, v86, v95
	v_dual_add_f32 v78, v84, v96 :: v_dual_add_f32 v77, v87, v102
	ds_store_b128 v202, v[72:75]
	ds_store_b128 v202, v[76:79] offset:16
	v_dual_sub_f32 v74, v82, v98 :: v_dual_fmac_f32 v91, 0x3e9e377a, v100
	v_mul_f32_e32 v80, 0xbf167918, v104
	v_mul_f32_e32 v82, 0xbf4f1bbd, v104
	v_fmac_f32_e32 v81, 0xbf167918, v85
	v_fmac_f32_e32 v209, 0x3e9e377a, v208
	v_sub_f32_e32 v75, v83, v99
	v_fmac_f32_e32 v80, 0xbf4f1bbd, v91
	v_fmac_f32_e32 v82, 0x3f167918, v91
	;; [unrolled: 1-line block ×3, first 2 shown]
	v_sub_f32_e32 v76, v210, v89
	v_sub_f32_e32 v78, v86, v95
	v_dual_add_f32 v72, v209, v80 :: v_dual_sub_f32 v77, v211, v101
	s_delay_alu instid0(VALU_DEP_4)
	v_add_f32_e32 v73, v81, v82
	v_sub_f32_e32 v79, v87, v102
	ds_store_b128 v202, v[72:75] offset:32
	ds_store_b128 v202, v[76:79] offset:48
	v_dual_sub_f32 v73, v230, v103 :: v_dual_sub_f32 v72, v84, v96
	v_sub_f32_e32 v74, v209, v80
	v_sub_f32_e32 v75, v81, v82
	ds_store_b128 v202, v[72:75] offset:64
	s_waitcnt lgkmcnt(0)
	s_barrier
	buffer_gl0_inv
	ds_load_2addr_b64 v[74:77], v201 offset0:64 offset1:224
	ds_load_2addr_b64 v[78:81], v194 offset1:160
	s_waitcnt lgkmcnt(1)
	v_mul_f32_e32 v72, v1, v75
	v_mul_f32_e32 v1, v1, v74
	s_delay_alu instid0(VALU_DEP_2) | instskip(NEXT) | instid1(VALU_DEP_2)
	v_fmac_f32_e32 v72, v0, v74
	v_fma_f32 v73, v0, v75, -v1
	s_waitcnt lgkmcnt(0)
	v_mul_f32_e32 v0, v3, v78
	v_dual_mul_f32 v74, v3, v79 :: v_dual_mul_f32 v1, v29, v76
	v_mul_f32_e32 v3, v31, v80
	s_delay_alu instid0(VALU_DEP_3) | instskip(SKIP_1) | instid1(VALU_DEP_4)
	v_fma_f32 v75, v2, v79, -v0
	v_mul_f32_e32 v0, v29, v77
	v_fmac_f32_e32 v74, v2, v78
	v_fma_f32 v1, v28, v77, -v1
	v_mul_f32_e32 v2, v31, v81
	v_fma_f32 v3, v30, v81, -v3
	v_fmac_f32_e32 v0, v28, v76
	ds_load_2addr_b64 v[76:79], v200 offset0:64 offset1:224
	v_fmac_f32_e32 v2, v30, v80
	ds_load_2addr_b64 v[80:83], v193 offset1:160
	s_waitcnt lgkmcnt(1)
	v_mul_f32_e32 v28, v5, v77
	s_waitcnt lgkmcnt(0)
	v_mul_f32_e32 v30, v7, v81
	s_delay_alu instid0(VALU_DEP_2) | instskip(SKIP_1) | instid1(VALU_DEP_3)
	v_fmac_f32_e32 v28, v4, v76
	v_mul_f32_e32 v5, v5, v76
	v_fmac_f32_e32 v30, v6, v80
	s_delay_alu instid0(VALU_DEP_3) | instskip(NEXT) | instid1(VALU_DEP_3)
	v_add_f32_e32 v85, v72, v28
	v_fma_f32 v29, v4, v77, -v5
	v_dual_mul_f32 v4, v7, v80 :: v_dual_mul_f32 v5, v21, v78
	s_delay_alu instid0(VALU_DEP_2) | instskip(NEXT) | instid1(VALU_DEP_2)
	v_dual_mul_f32 v7, v23, v82 :: v_dual_add_f32 v86, v73, v29
	v_fma_f32 v31, v6, v81, -v4
	s_delay_alu instid0(VALU_DEP_3) | instskip(SKIP_3) | instid1(VALU_DEP_3)
	v_fma_f32 v6, v20, v79, -v5
	v_mul_f32_e32 v5, v23, v83
	v_mul_f32_e32 v4, v21, v79
	v_fma_f32 v7, v22, v83, -v7
	v_fmac_f32_e32 v5, v22, v82
	ds_load_2addr_b64 v[80:83], v196 offset1:160
	v_fmac_f32_e32 v4, v20, v78
	ds_load_2addr_b64 v[76:79], v199 offset0:64 offset1:224
	s_waitcnt lgkmcnt(1)
	v_mul_f32_e32 v22, v27, v81
	s_waitcnt lgkmcnt(0)
	v_mul_f32_e32 v20, v25, v76
	s_delay_alu instid0(VALU_DEP_2) | instskip(NEXT) | instid1(VALU_DEP_1)
	v_dual_fmac_f32 v22, v26, v80 :: v_dual_mul_f32 v21, v25, v77
	v_sub_f32_e32 v103, v30, v22
	s_delay_alu instid0(VALU_DEP_2) | instskip(NEXT) | instid1(VALU_DEP_4)
	v_fmac_f32_e32 v21, v24, v76
	v_fma_f32 v24, v24, v77, -v20
	v_mul_f32_e32 v20, v27, v80
	v_add_f32_e32 v96, v30, v22
	s_delay_alu instid0(VALU_DEP_3) | instskip(NEXT) | instid1(VALU_DEP_3)
	v_add_f32_e32 v86, v86, v24
	v_fma_f32 v23, v26, v81, -v20
	v_mul_f32_e32 v20, v13, v79
	s_delay_alu instid0(VALU_DEP_2) | instskip(NEXT) | instid1(VALU_DEP_2)
	v_dual_sub_f32 v100, v31, v23 :: v_dual_mul_f32 v13, v13, v78
	v_fmac_f32_e32 v20, v12, v78
	s_delay_alu instid0(VALU_DEP_2)
	v_fma_f32 v13, v12, v79, -v13
	v_mul_f32_e32 v12, v15, v83
	v_mul_f32_e32 v15, v15, v82
	ds_load_2addr_b64 v[76:79], v198 offset0:64 offset1:224
	v_fmac_f32_e32 v12, v14, v82
	v_fma_f32 v14, v14, v83, -v15
	ds_load_2addr_b64 v[80:83], v195 offset1:160
	s_waitcnt lgkmcnt(1)
	v_mul_f32_e32 v25, v9, v77
	v_mul_f32_e32 v9, v9, v76
	s_delay_alu instid0(VALU_DEP_2) | instskip(NEXT) | instid1(VALU_DEP_2)
	v_fmac_f32_e32 v25, v8, v76
	v_fma_f32 v76, v8, v77, -v9
	s_waitcnt lgkmcnt(0)
	v_mul_f32_e32 v8, v11, v80
	v_dual_mul_f32 v26, v11, v81 :: v_dual_mul_f32 v9, v17, v78
	v_sub_f32_e32 v91, v21, v25
	v_sub_f32_e32 v93, v24, v76
	s_delay_alu instid0(VALU_DEP_4) | instskip(SKIP_4) | instid1(VALU_DEP_4)
	v_fma_f32 v27, v10, v81, -v8
	v_mul_f32_e32 v8, v17, v79
	v_fmac_f32_e32 v26, v10, v80
	v_fma_f32 v10, v16, v79, -v9
	v_mul_f32_e32 v11, v19, v82
	v_dual_sub_f32 v99, v75, v27 :: v_dual_fmac_f32 v8, v16, v78
	ds_load_2addr_b64 v[77:80], v197 offset0:64 offset1:224
	v_dual_sub_f32 v102, v74, v26 :: v_dual_mul_f32 v9, v19, v83
	v_fma_f32 v11, v18, v83, -v11
	v_sub_f32_e32 v19, v74, v30
	v_add_f32_e32 v86, v86, v76
	s_delay_alu instid0(VALU_DEP_4) | instskip(SKIP_2) | instid1(VALU_DEP_1)
	v_fmac_f32_e32 v9, v18, v82
	s_waitcnt lgkmcnt(0)
	v_dual_mul_f32 v15, v146, v77 :: v_dual_mul_f32 v16, v148, v79
	v_fma_f32 v18, v145, v78, -v15
	v_mul_f32_e32 v15, v148, v80
	s_delay_alu instid0(VALU_DEP_3) | instskip(NEXT) | instid1(VALU_DEP_3)
	v_fma_f32 v16, v147, v80, -v16
	v_dual_add_f32 v97, v31, v23 :: v_dual_sub_f32 v92, v29, v18
	v_dual_mul_f32 v17, v146, v78 :: v_dual_sub_f32 v78, v27, v23
	s_delay_alu instid0(VALU_DEP_4) | instskip(SKIP_1) | instid1(VALU_DEP_3)
	v_dual_fmac_f32 v15, v147, v79 :: v_dual_sub_f32 v80, v18, v76
	v_add_f32_e32 v147, v86, v18
	v_fmac_f32_e32 v17, v145, v77
	v_sub_f32_e32 v77, v26, v22
	s_delay_alu instid0(VALU_DEP_2) | instskip(NEXT) | instid1(VALU_DEP_2)
	v_sub_f32_e32 v79, v17, v25
	v_add_f32_e32 v19, v19, v77
	v_dual_sub_f32 v77, v75, v31 :: v_dual_sub_f32 v90, v28, v17
	s_delay_alu instid0(VALU_DEP_1) | instskip(NEXT) | instid1(VALU_DEP_1)
	v_dual_add_f32 v77, v77, v78 :: v_dual_sub_f32 v78, v28, v21
	v_dual_add_f32 v78, v78, v79 :: v_dual_sub_f32 v79, v29, v24
	s_delay_alu instid0(VALU_DEP_1) | instskip(SKIP_1) | instid1(VALU_DEP_1)
	v_add_f32_e32 v87, v79, v80
	v_add_f32_e32 v79, v21, v25
	v_fma_f32 v88, -0.5, v79, v72
	s_delay_alu instid0(VALU_DEP_1) | instskip(SKIP_1) | instid1(VALU_DEP_2)
	v_fmamk_f32 v80, v92, 0xbf737871, v88
	v_fmac_f32_e32 v88, 0x3f737871, v92
	v_fmac_f32_e32 v80, 0xbf167918, v93
	s_delay_alu instid0(VALU_DEP_2) | instskip(SKIP_1) | instid1(VALU_DEP_3)
	v_dual_fmac_f32 v88, 0x3f167918, v93 :: v_dual_add_f32 v79, v24, v76
	v_sub_f32_e32 v24, v24, v29
	v_fmac_f32_e32 v80, 0x3e9e377a, v78
	s_delay_alu instid0(VALU_DEP_3) | instskip(NEXT) | instid1(VALU_DEP_4)
	v_fmac_f32_e32 v88, 0x3e9e377a, v78
	v_fma_f32 v89, -0.5, v79, v73
	s_delay_alu instid0(VALU_DEP_1) | instskip(SKIP_1) | instid1(VALU_DEP_2)
	v_dual_sub_f32 v78, v7, v14 :: v_dual_fmamk_f32 v79, v90, 0x3f737871, v89
	v_fmac_f32_e32 v89, 0xbf737871, v90
	v_fmac_f32_e32 v79, 0x3f167918, v91
	s_delay_alu instid0(VALU_DEP_2) | instskip(NEXT) | instid1(VALU_DEP_2)
	v_fmac_f32_e32 v89, 0xbf167918, v91
	v_fmac_f32_e32 v79, 0x3e9e377a, v87
	s_delay_alu instid0(VALU_DEP_1) | instskip(NEXT) | instid1(VALU_DEP_1)
	v_mul_f32_e32 v94, 0xbf167918, v79
	v_dual_mul_f32 v95, 0x3f4f1bbd, v79 :: v_dual_fmac_f32 v94, 0x3f4f1bbd, v80
	s_delay_alu instid0(VALU_DEP_1)
	v_fmac_f32_e32 v95, 0x3f167918, v80
	ds_load_2addr_b64 v[79:82], v192 offset1:160
	s_waitcnt lgkmcnt(0)
	s_barrier
	buffer_gl0_inv
	v_dual_add_f32 v83, v79, v74 :: v_dual_add_f32 v84, v80, v75
	v_fma_f32 v97, -0.5, v97, v80
	v_fma_f32 v96, -0.5, v96, v79
	s_delay_alu instid0(VALU_DEP_3) | instskip(NEXT) | instid1(VALU_DEP_3)
	v_dual_add_f32 v83, v83, v30 :: v_dual_add_f32 v84, v84, v31
	v_fmamk_f32 v104, v102, 0x3f737871, v97
	s_delay_alu instid0(VALU_DEP_3) | instskip(NEXT) | instid1(VALU_DEP_3)
	v_fmamk_f32 v101, v99, 0xbf737871, v96
	v_dual_fmac_f32 v96, 0x3f737871, v99 :: v_dual_add_f32 v83, v83, v22
	v_sub_f32_e32 v22, v22, v26
	v_add_f32_e32 v84, v84, v23
	v_sub_f32_e32 v23, v23, v27
	v_fmac_f32_e32 v104, 0x3f167918, v103
	v_add_f32_e32 v98, v83, v26
	v_dual_add_f32 v26, v74, v26 :: v_dual_add_f32 v85, v85, v21
	v_add_f32_e32 v145, v84, v27
	v_dual_sub_f32 v21, v21, v28 :: v_dual_add_f32 v28, v28, v17
	v_add_f32_e32 v27, v75, v27
	s_delay_alu instid0(VALU_DEP_4)
	v_add_f32_e32 v85, v85, v25
	v_fmac_f32_e32 v104, 0x3e9e377a, v77
	v_fmac_f32_e32 v101, 0xbf167918, v100
	v_fmac_f32_e32 v72, -0.5, v28
	v_fmac_f32_e32 v96, 0x3f167918, v100
	v_add_f32_e32 v146, v85, v17
	v_sub_f32_e32 v17, v25, v17
	v_add_f32_e32 v25, v29, v18
	v_sub_f32_e32 v18, v76, v18
	v_dual_sub_f32 v29, v30, v74 :: v_dual_sub_f32 v30, v31, v75
	s_delay_alu instid0(VALU_DEP_4) | instskip(NEXT) | instid1(VALU_DEP_3)
	v_add_f32_e32 v17, v21, v17
	v_dual_add_f32 v75, v5, v12 :: v_dual_add_f32 v18, v24, v18
	v_fma_f32 v24, -0.5, v26, v79
	v_fma_f32 v26, -0.5, v27, v80
	v_dual_add_f32 v23, v30, v23 :: v_dual_add_f32 v22, v29, v22
	s_delay_alu instid0(VALU_DEP_4) | instskip(NEXT) | instid1(VALU_DEP_3)
	v_fma_f32 v75, -0.5, v75, v81
	v_fmamk_f32 v27, v103, 0xbf737871, v26
	v_fmac_f32_e32 v26, 0x3f737871, v103
	s_delay_alu instid0(VALU_DEP_2) | instskip(NEXT) | instid1(VALU_DEP_2)
	v_fmac_f32_e32 v27, 0x3f167918, v102
	v_fmac_f32_e32 v26, 0xbf167918, v102
	s_delay_alu instid0(VALU_DEP_1)
	v_fmac_f32_e32 v26, 0x3e9e377a, v23
	v_fmamk_f32 v21, v93, 0x3f737871, v72
	v_fmac_f32_e32 v72, 0xbf737871, v93
	v_sub_f32_e32 v80, v2, v9
	v_fmac_f32_e32 v73, -0.5, v25
	v_fmac_f32_e32 v97, 0xbf737871, v102
	v_fmac_f32_e32 v21, 0xbf167918, v92
	;; [unrolled: 1-line block ×3, first 2 shown]
	v_fmamk_f32 v25, v100, 0x3f737871, v24
	v_fmac_f32_e32 v24, 0xbf737871, v100
	v_fmac_f32_e32 v97, 0xbf167918, v103
	;; [unrolled: 1-line block ×4, first 2 shown]
	v_fmamk_f32 v17, v91, 0xbf737871, v73
	v_fmac_f32_e32 v73, 0x3f737871, v91
	v_fmac_f32_e32 v97, 0x3e9e377a, v77
	v_sub_f32_e32 v77, v3, v11
	v_fmac_f32_e32 v25, 0xbf167918, v99
	v_fmac_f32_e32 v17, 0x3f167918, v90
	;; [unrolled: 1-line block ×5, first 2 shown]
	v_fmamk_f32 v79, v77, 0xbf737871, v75
	v_fmac_f32_e32 v17, 0x3e9e377a, v18
	v_fmac_f32_e32 v73, 0x3e9e377a, v18
	;; [unrolled: 1-line block ×5, first 2 shown]
	v_mul_f32_e32 v23, 0xbf737871, v17
	v_mul_f32_e32 v28, 0x3e9e377a, v17
	;; [unrolled: 1-line block ×4, first 2 shown]
	v_fmac_f32_e32 v25, 0x3e9e377a, v22
	v_fmac_f32_e32 v23, 0x3e9e377a, v21
	;; [unrolled: 1-line block ×6, first 2 shown]
	s_delay_alu instid0(VALU_DEP_4) | instskip(NEXT) | instid1(VALU_DEP_3)
	v_dual_add_f32 v17, v25, v23 :: v_dual_add_f32 v18, v27, v28
	v_dual_add_f32 v21, v24, v29 :: v_dual_add_f32 v22, v26, v30
	v_fmac_f32_e32 v101, 0x3e9e377a, v19
	v_fmac_f32_e32 v96, 0x3e9e377a, v19
	ds_store_2addr_b64 v203, v[17:18], v[21:22] offset0:20 offset1:30
	v_sub_f32_e32 v18, v145, v147
	v_fmac_f32_e32 v89, 0x3e9e377a, v87
	v_sub_f32_e32 v17, v98, v146
	s_delay_alu instid0(VALU_DEP_2) | instskip(SKIP_1) | instid1(VALU_DEP_2)
	v_mul_f32_e32 v19, 0xbf167918, v89
	v_mul_f32_e32 v31, 0xbf4f1bbd, v89
	v_fmac_f32_e32 v19, 0xbf4f1bbd, v88
	s_delay_alu instid0(VALU_DEP_2) | instskip(NEXT) | instid1(VALU_DEP_2)
	v_fmac_f32_e32 v31, 0x3f167918, v88
	v_add_f32_e32 v21, v96, v19
	s_delay_alu instid0(VALU_DEP_2)
	v_add_f32_e32 v22, v97, v31
	ds_store_2addr_b64 v203, v[21:22], v[17:18] offset0:40 offset1:50
	v_dual_sub_f32 v17, v101, v94 :: v_dual_sub_f32 v18, v104, v95
	v_dual_sub_f32 v21, v25, v23 :: v_dual_sub_f32 v22, v27, v28
	v_sub_f32_e32 v28, v4, v15
	ds_store_2addr_b64 v203, v[17:18], v[21:22] offset0:60 offset1:70
	v_dual_sub_f32 v17, v24, v29 :: v_dual_sub_f32 v18, v26, v30
	v_sub_f32_e32 v22, v97, v31
	v_dual_sub_f32 v30, v6, v16 :: v_dual_sub_f32 v21, v96, v19
	v_sub_f32_e32 v31, v13, v10
	v_sub_f32_e32 v29, v20, v8
	v_add_f32_e32 v86, v104, v95
	ds_store_2addr_b64 v203, v[17:18], v[21:22] offset0:80 offset1:90
	v_dual_sub_f32 v17, v2, v5 :: v_dual_sub_f32 v18, v9, v12
	v_dual_add_f32 v21, v0, v4 :: v_dual_add_f32 v22, v1, v6
	s_delay_alu instid0(VALU_DEP_2) | instskip(SKIP_1) | instid1(VALU_DEP_3)
	v_add_f32_e32 v19, v17, v18
	v_sub_f32_e32 v17, v3, v7
	v_dual_sub_f32 v18, v11, v14 :: v_dual_add_f32 v21, v21, v20
	s_delay_alu instid0(VALU_DEP_1) | instskip(SKIP_2) | instid1(VALU_DEP_4)
	v_dual_add_f32 v22, v22, v13 :: v_dual_add_f32 v23, v17, v18
	v_sub_f32_e32 v17, v4, v20
	v_sub_f32_e32 v18, v15, v8
	v_add_f32_e32 v21, v21, v8
	v_add_f32_e32 v83, v98, v146
	;; [unrolled: 1-line block ×3, first 2 shown]
	s_delay_alu instid0(VALU_DEP_4) | instskip(NEXT) | instid1(VALU_DEP_2)
	v_dual_add_f32 v24, v17, v18 :: v_dual_sub_f32 v17, v6, v13
	v_dual_sub_f32 v18, v16, v10 :: v_dual_add_f32 v87, v22, v16
	s_delay_alu instid0(VALU_DEP_1) | instskip(SKIP_2) | instid1(VALU_DEP_2)
	v_add_f32_e32 v25, v17, v18
	v_add_f32_e32 v17, v20, v8
	v_sub_f32_e32 v8, v8, v15
	v_fma_f32 v26, -0.5, v17, v0
	v_add_f32_e32 v17, v13, v10
	v_dual_sub_f32 v13, v13, v6 :: v_dual_add_f32 v6, v6, v16
	v_sub_f32_e32 v10, v10, v16
	s_delay_alu instid0(VALU_DEP_4) | instskip(NEXT) | instid1(VALU_DEP_4)
	v_fmamk_f32 v18, v30, 0xbf737871, v26
	v_fma_f32 v27, -0.5, v17, v1
	v_fmac_f32_e32 v26, 0x3f737871, v30
	v_fmac_f32_e32 v1, -0.5, v6
	v_add_f32_e32 v6, v13, v10
	v_fmac_f32_e32 v18, 0xbf167918, v31
	v_fmamk_f32 v17, v28, 0x3f737871, v27
	v_fmac_f32_e32 v27, 0xbf737871, v28
	v_fmac_f32_e32 v26, 0x3f167918, v31
	s_delay_alu instid0(VALU_DEP_4) | instskip(NEXT) | instid1(VALU_DEP_4)
	v_fmac_f32_e32 v18, 0x3e9e377a, v24
	v_fmac_f32_e32 v17, 0x3f167918, v29
	s_delay_alu instid0(VALU_DEP_4) | instskip(NEXT) | instid1(VALU_DEP_2)
	v_fmac_f32_e32 v27, 0xbf167918, v29
	v_dual_fmac_f32 v26, 0x3e9e377a, v24 :: v_dual_fmac_f32 v17, 0x3e9e377a, v25
	s_delay_alu instid0(VALU_DEP_2) | instskip(NEXT) | instid1(VALU_DEP_2)
	v_fmac_f32_e32 v27, 0x3e9e377a, v25
	v_mul_f32_e32 v72, 0xbf167918, v17
	v_mul_f32_e32 v73, 0x3f4f1bbd, v17
	v_add_f32_e32 v17, v7, v14
	s_delay_alu instid0(VALU_DEP_3) | instskip(NEXT) | instid1(VALU_DEP_3)
	v_fmac_f32_e32 v72, 0x3f4f1bbd, v18
	v_dual_fmac_f32 v73, 0x3f167918, v18 :: v_dual_add_f32 v18, v82, v3
	v_add_f32_e32 v85, v101, v94
	v_add_f32_e32 v84, v145, v147
	v_fma_f32 v74, -0.5, v17, v82
	s_delay_alu instid0(VALU_DEP_4)
	v_dual_add_f32 v17, v81, v2 :: v_dual_add_f32 v18, v18, v7
	v_sub_f32_e32 v7, v7, v3
	ds_store_2addr_b64 v203, v[83:84], v[85:86] offset1:10
	v_sub_f32_e32 v83, v5, v12
	v_dual_add_f32 v17, v17, v5 :: v_dual_add_f32 v18, v18, v14
	v_add_f32_e32 v3, v3, v11
	v_dual_sub_f32 v5, v5, v2 :: v_dual_add_f32 v2, v2, v9
	s_delay_alu instid0(VALU_DEP_3) | instskip(NEXT) | instid1(VALU_DEP_4)
	v_add_f32_e32 v17, v17, v12
	v_add_f32_e32 v85, v18, v11
	v_dual_sub_f32 v11, v14, v11 :: v_dual_sub_f32 v14, v20, v4
	v_add_f32_e32 v4, v4, v15
	v_fmac_f32_e32 v82, -0.5, v3
	s_delay_alu instid0(VALU_DEP_3) | instskip(SKIP_1) | instid1(VALU_DEP_4)
	v_dual_sub_f32 v12, v12, v9 :: v_dual_add_f32 v3, v7, v11
	v_fma_f32 v7, -0.5, v2, v81
	v_fmac_f32_e32 v0, -0.5, v4
	v_add_f32_e32 v4, v14, v8
	s_delay_alu instid0(VALU_DEP_4)
	v_add_f32_e32 v5, v5, v12
	v_add_f32_e32 v76, v17, v9
	v_fmamk_f32 v8, v78, 0x3f737871, v7
	v_fmac_f32_e32 v7, 0xbf737871, v78
	v_fmamk_f32 v2, v31, 0x3f737871, v0
	v_fmac_f32_e32 v0, 0xbf737871, v31
	;; [unrolled: 2-line block ×3, first 2 shown]
	v_fmac_f32_e32 v7, 0x3f167918, v77
	v_fmac_f32_e32 v2, 0xbf167918, v30
	;; [unrolled: 1-line block ×6, first 2 shown]
	v_fmamk_f32 v5, v83, 0xbf737871, v82
	v_fmac_f32_e32 v82, 0x3f737871, v83
	v_fmac_f32_e32 v2, 0x3e9e377a, v4
	;; [unrolled: 1-line block ×5, first 2 shown]
	v_dual_fmac_f32 v82, 0xbf167918, v80 :: v_dual_mul_f32 v11, 0xbf167918, v27
	v_mul_f32_e32 v12, 0xbf4f1bbd, v27
	v_add_f32_e32 v86, v21, v15
	s_delay_alu instid0(VALU_DEP_4) | instskip(NEXT) | instid1(VALU_DEP_4)
	v_fmac_f32_e32 v5, 0x3e9e377a, v3
	v_fmac_f32_e32 v82, 0x3e9e377a, v3
	v_fmamk_f32 v3, v29, 0xbf737871, v1
	v_fmac_f32_e32 v1, 0x3f737871, v29
	v_fmac_f32_e32 v74, 0x3e9e377a, v23
	;; [unrolled: 1-line block ×11, first 2 shown]
	v_dual_add_f32 v17, v76, v86 :: v_dual_add_f32 v18, v85, v87
	s_delay_alu instid0(VALU_DEP_3) | instskip(SKIP_1) | instid1(VALU_DEP_4)
	v_dual_add_f32 v21, v79, v72 :: v_dual_mul_f32 v4, 0xbf737871, v3
	v_mul_f32_e32 v6, 0x3e9e377a, v3
	v_mul_f32_e32 v9, 0xbf737871, v1
	;; [unrolled: 1-line block ×3, first 2 shown]
	s_delay_alu instid0(VALU_DEP_4) | instskip(NEXT) | instid1(VALU_DEP_4)
	v_fmac_f32_e32 v4, 0x3e9e377a, v2
	v_fmac_f32_e32 v6, 0x3f737871, v2
	s_delay_alu instid0(VALU_DEP_4) | instskip(NEXT) | instid1(VALU_DEP_4)
	v_fmac_f32_e32 v9, 0xbe9e377a, v0
	v_fmac_f32_e32 v10, 0x3f737871, v0
	s_delay_alu instid0(VALU_DEP_3) | instskip(NEXT) | instid1(VALU_DEP_2)
	v_dual_add_f32 v0, v8, v4 :: v_dual_add_f32 v1, v5, v6
	v_dual_add_f32 v2, v7, v9 :: v_dual_add_f32 v3, v82, v10
	ds_store_2addr_b64 v205, v[0:1], v[2:3] offset0:20 offset1:30
	v_dual_sub_f32 v0, v76, v86 :: v_dual_sub_f32 v1, v85, v87
	v_dual_add_f32 v2, v75, v11 :: v_dual_add_f32 v3, v74, v12
	ds_store_2addr_b64 v205, v[2:3], v[0:1] offset0:40 offset1:50
	v_sub_f32_e32 v0, v79, v72
	v_fmac_f32_e32 v84, 0x3e9e377a, v23
	v_dual_sub_f32 v2, v8, v4 :: v_dual_sub_f32 v3, v5, v6
	s_delay_alu instid0(VALU_DEP_2)
	v_sub_f32_e32 v1, v84, v73
	v_add_f32_e32 v22, v84, v73
	ds_store_2addr_b64 v205, v[0:1], v[2:3] offset0:60 offset1:70
	v_dual_sub_f32 v1, v82, v10 :: v_dual_sub_f32 v0, v7, v9
	v_dual_sub_f32 v2, v75, v11 :: v_dual_sub_f32 v3, v74, v12
	ds_store_2addr_b64 v205, v[17:18], v[21:22] offset1:10
	ds_store_2addr_b64 v205, v[0:1], v[2:3] offset0:80 offset1:90
	s_waitcnt lgkmcnt(0)
	s_barrier
	buffer_gl0_inv
	ds_load_2addr_b64 v[0:3], v195 offset1:160
	s_waitcnt lgkmcnt(0)
	v_mul_f32_e32 v16, v152, v1
	v_mul_f32_e32 v18, v154, v3
	s_delay_alu instid0(VALU_DEP_2) | instskip(SKIP_1) | instid1(VALU_DEP_3)
	v_fmac_f32_e32 v16, v151, v0
	v_mul_f32_e32 v0, v152, v0
	v_fmac_f32_e32 v18, v153, v2
	s_delay_alu instid0(VALU_DEP_2) | instskip(SKIP_1) | instid1(VALU_DEP_1)
	v_fma_f32 v17, v151, v1, -v0
	v_mul_f32_e32 v0, v154, v2
	v_fma_f32 v19, v153, v3, -v0
	ds_load_2addr_b64 v[0:3], v197 offset0:64 offset1:224
	s_waitcnt lgkmcnt(0)
	v_mul_f32_e32 v20, v158, v1
	v_mul_f32_e32 v22, v156, v3
	s_delay_alu instid0(VALU_DEP_2) | instskip(SKIP_1) | instid1(VALU_DEP_3)
	v_fmac_f32_e32 v20, v157, v0
	v_mul_f32_e32 v0, v158, v0
	v_fmac_f32_e32 v22, v155, v2
	s_delay_alu instid0(VALU_DEP_2) | instskip(SKIP_1) | instid1(VALU_DEP_1)
	v_fma_f32 v21, v157, v1, -v0
	v_mul_f32_e32 v0, v156, v2
	v_fma_f32 v23, v155, v3, -v0
	ds_load_2addr_b64 v[0:3], v198 offset0:64 offset1:224
	s_waitcnt lgkmcnt(0)
	v_mul_f32_e32 v4, v150, v3
	v_mul_f32_e32 v24, v51, v1
	s_delay_alu instid0(VALU_DEP_2) | instskip(SKIP_1) | instid1(VALU_DEP_3)
	v_fmac_f32_e32 v4, v149, v2
	v_mul_f32_e32 v2, v150, v2
	v_fmac_f32_e32 v24, v50, v0
	v_mul_f32_e32 v0, v51, v0
	s_delay_alu instid0(VALU_DEP_3) | instskip(NEXT) | instid1(VALU_DEP_2)
	v_fma_f32 v5, v149, v3, -v2
	v_fma_f32 v25, v50, v1, -v0
	ds_load_2addr_b64 v[0:3], v193 offset1:160
	s_waitcnt lgkmcnt(0)
	v_mul_f32_e32 v26, v49, v3
	v_mul_f32_e32 v28, v45, v1
	s_delay_alu instid0(VALU_DEP_2) | instskip(SKIP_1) | instid1(VALU_DEP_3)
	v_fmac_f32_e32 v26, v48, v2
	v_mul_f32_e32 v2, v49, v2
	v_fmac_f32_e32 v28, v44, v0
	v_mul_f32_e32 v0, v45, v0
	s_delay_alu instid0(VALU_DEP_3) | instskip(NEXT) | instid1(VALU_DEP_2)
	v_fma_f32 v27, v48, v3, -v2
	v_fma_f32 v29, v44, v1, -v0
	ds_load_2addr_b64 v[0:3], v196 offset1:160
	s_waitcnt lgkmcnt(0)
	v_mul_f32_e32 v30, v47, v3
	v_mul_f32_e32 v44, v43, v1
	s_delay_alu instid0(VALU_DEP_2) | instskip(SKIP_1) | instid1(VALU_DEP_3)
	v_fmac_f32_e32 v30, v46, v2
	v_mul_f32_e32 v2, v47, v2
	v_fmac_f32_e32 v44, v42, v0
	v_mul_f32_e32 v0, v43, v0
	s_delay_alu instid0(VALU_DEP_3) | instskip(NEXT) | instid1(VALU_DEP_2)
	v_fma_f32 v31, v46, v3, -v2
	v_fma_f32 v42, v42, v1, -v0
	ds_load_2addr_b64 v[0:3], v200 offset0:64 offset1:224
	s_waitcnt lgkmcnt(0)
	v_mul_f32_e32 v43, v41, v3
	s_delay_alu instid0(VALU_DEP_1) | instskip(SKIP_2) | instid1(VALU_DEP_2)
	v_fmac_f32_e32 v43, v40, v2
	v_mul_f32_e32 v2, v41, v2
	v_mul_f32_e32 v41, v37, v1
	v_fma_f32 v40, v40, v3, -v2
	s_delay_alu instid0(VALU_DEP_2) | instskip(SKIP_1) | instid1(VALU_DEP_1)
	v_fmac_f32_e32 v41, v36, v0
	v_mul_f32_e32 v0, v37, v0
	v_fma_f32 v36, v36, v1, -v0
	ds_load_2addr_b64 v[0:3], v199 offset0:64 offset1:224
	s_waitcnt lgkmcnt(0)
	v_mul_f32_e32 v37, v39, v3
	s_delay_alu instid0(VALU_DEP_1) | instskip(SKIP_1) | instid1(VALU_DEP_2)
	v_dual_mul_f32 v6, v35, v1 :: v_dual_fmac_f32 v37, v38, v2
	v_mul_f32_e32 v2, v39, v2
	v_fmac_f32_e32 v6, v34, v0
	v_mul_f32_e32 v0, v35, v0
	s_delay_alu instid0(VALU_DEP_3) | instskip(NEXT) | instid1(VALU_DEP_2)
	v_fma_f32 v38, v38, v3, -v2
	v_fma_f32 v7, v34, v1, -v0
	ds_load_2addr_b64 v[0:3], v194 offset1:160
	s_waitcnt lgkmcnt(0)
	v_mul_f32_e32 v8, v33, v3
	s_delay_alu instid0(VALU_DEP_1) | instskip(NEXT) | instid1(VALU_DEP_1)
	v_fmac_f32_e32 v8, v32, v2
	v_dual_mul_f32 v2, v33, v2 :: v_dual_sub_f32 v11, v8, v4
	s_delay_alu instid0(VALU_DEP_1) | instskip(NEXT) | instid1(VALU_DEP_2)
	v_fma_f32 v9, v32, v3, -v2
	v_fma_f32 v8, v8, 2.0, -v11
	s_delay_alu instid0(VALU_DEP_2) | instskip(SKIP_4) | instid1(VALU_DEP_1)
	v_sub_f32_e32 v10, v9, v5
	ds_load_2addr_b64 v[2:5], v192 offset1:160
	v_fma_f32 v9, v9, 2.0, -v10
	s_waitcnt lgkmcnt(0)
	v_dual_sub_f32 v6, v2, v6 :: v_dual_sub_f32 v7, v3, v7
	v_fma_f32 v12, v2, 2.0, -v6
	s_delay_alu instid0(VALU_DEP_2) | instskip(SKIP_1) | instid1(VALU_DEP_2)
	v_fma_f32 v13, v3, 2.0, -v7
	v_dual_add_f32 v10, v6, v10 :: v_dual_sub_f32 v11, v7, v11
	v_dual_sub_f32 v2, v12, v8 :: v_dual_sub_f32 v3, v13, v9
	s_delay_alu instid0(VALU_DEP_2) | instskip(NEXT) | instid1(VALU_DEP_3)
	v_fma_f32 v14, v6, 2.0, -v10
	v_fma_f32 v15, v7, 2.0, -v11
	ds_load_2addr_b64 v[6:9], v201 offset0:64 offset1:224
	v_fma_f32 v12, v12, 2.0, -v2
	v_fma_f32 v13, v13, 2.0, -v3
	s_waitcnt lgkmcnt(0)
	s_barrier
	buffer_gl0_inv
	ds_store_2addr_b64 v214, v[12:13], v[14:15] offset1:100
	scratch_load_b32 v12, off, off offset:8 ; 4-byte Folded Reload
	v_sub_f32_e32 v13, v5, v38
	s_waitcnt vmcnt(0)
	ds_store_2addr_b64 v12, v[2:3], v[10:11] offset0:72 offset1:172
	v_sub_f32_e32 v12, v4, v37
	v_fma_f32 v11, v5, 2.0, -v13
	v_sub_f32_e32 v5, v41, v16
	s_delay_alu instid0(VALU_DEP_3) | instskip(SKIP_1) | instid1(VALU_DEP_3)
	v_fma_f32 v10, v4, 2.0, -v12
	v_sub_f32_e32 v4, v36, v17
	v_fma_f32 v2, v41, 2.0, -v5
	v_sub_f32_e32 v5, v13, v5
	s_delay_alu instid0(VALU_DEP_3) | instskip(NEXT) | instid1(VALU_DEP_3)
	v_fma_f32 v3, v36, 2.0, -v4
	v_sub_f32_e32 v2, v10, v2
	v_add_f32_e32 v4, v12, v4
	s_delay_alu instid0(VALU_DEP_4) | instskip(NEXT) | instid1(VALU_DEP_4)
	v_fma_f32 v13, v13, 2.0, -v5
	v_sub_f32_e32 v3, v11, v3
	s_delay_alu instid0(VALU_DEP_4) | instskip(NEXT) | instid1(VALU_DEP_4)
	v_fma_f32 v10, v10, 2.0, -v2
	v_fma_f32 v12, v12, 2.0, -v4
	s_delay_alu instid0(VALU_DEP_3) | instskip(SKIP_3) | instid1(VALU_DEP_1)
	v_fma_f32 v11, v11, 2.0, -v3
	ds_store_2addr_b64 v206, v[10:11], v[12:13] offset1:100
	scratch_load_b32 v10, off, off offset:16 ; 4-byte Folded Reload
	v_sub_f32_e32 v11, v7, v42
	v_fma_f32 v7, v7, 2.0, -v11
	s_waitcnt vmcnt(0)
	ds_store_2addr_b64 v10, v[2:3], v[4:5] offset0:72 offset1:172
	v_dual_sub_f32 v5, v43, v18 :: v_dual_sub_f32 v4, v40, v19
	v_sub_f32_e32 v10, v6, v44
	s_delay_alu instid0(VALU_DEP_2) | instskip(NEXT) | instid1(VALU_DEP_3)
	v_fma_f32 v2, v43, 2.0, -v5
	v_fma_f32 v3, v40, 2.0, -v4
	s_delay_alu instid0(VALU_DEP_3) | instskip(SKIP_1) | instid1(VALU_DEP_2)
	v_fma_f32 v6, v6, 2.0, -v10
	v_dual_add_f32 v4, v10, v4 :: v_dual_sub_f32 v5, v11, v5
	v_dual_sub_f32 v3, v7, v3 :: v_dual_sub_f32 v2, v6, v2
	s_delay_alu instid0(VALU_DEP_2) | instskip(NEXT) | instid1(VALU_DEP_3)
	v_fma_f32 v10, v10, 2.0, -v4
	v_fma_f32 v11, v11, 2.0, -v5
	s_delay_alu instid0(VALU_DEP_3) | instskip(NEXT) | instid1(VALU_DEP_4)
	v_fma_f32 v7, v7, 2.0, -v3
	v_fma_f32 v6, v6, 2.0, -v2
	ds_store_2addr_b64 v191, v[6:7], v[10:11] offset1:100
	scratch_load_b32 v6, off, off offset:24 ; 4-byte Folded Reload
	v_dual_sub_f32 v10, v8, v30 :: v_dual_sub_f32 v11, v9, v31
	s_delay_alu instid0(VALU_DEP_1) | instskip(SKIP_4) | instid1(VALU_DEP_2)
	v_fma_f32 v7, v9, 2.0, -v11
	s_waitcnt vmcnt(0)
	ds_store_2addr_b64 v6, v[2:3], v[4:5] offset0:72 offset1:172
	v_dual_sub_f32 v5, v28, v20 :: v_dual_sub_f32 v4, v29, v21
	v_fma_f32 v6, v8, 2.0, -v10
	v_fma_f32 v2, v28, 2.0, -v5
	s_delay_alu instid0(VALU_DEP_3) | instskip(SKIP_1) | instid1(VALU_DEP_2)
	v_fma_f32 v3, v29, 2.0, -v4
	v_dual_add_f32 v4, v10, v4 :: v_dual_sub_f32 v5, v11, v5
	v_dual_sub_f32 v2, v6, v2 :: v_dual_sub_f32 v3, v7, v3
	s_delay_alu instid0(VALU_DEP_2) | instskip(NEXT) | instid1(VALU_DEP_3)
	v_fma_f32 v8, v10, 2.0, -v4
	v_fma_f32 v9, v11, 2.0, -v5
	s_delay_alu instid0(VALU_DEP_3) | instskip(NEXT) | instid1(VALU_DEP_4)
	v_fma_f32 v6, v6, 2.0, -v2
	v_fma_f32 v7, v7, 2.0, -v3
	ds_store_2addr_b64 v215, v[6:7], v[8:9] offset1:100
	scratch_load_b32 v6, off, off offset:20 ; 4-byte Folded Reload
	v_sub_f32_e32 v7, v1, v25
	s_waitcnt vmcnt(0)
	ds_store_2addr_b64 v6, v[2:3], v[4:5] offset0:72 offset1:172
	v_dual_sub_f32 v6, v0, v24 :: v_dual_sub_f32 v3, v26, v22
	v_sub_f32_e32 v2, v27, v23
	v_fma_f32 v5, v1, 2.0, -v7
	s_delay_alu instid0(VALU_DEP_3) | instskip(NEXT) | instid1(VALU_DEP_4)
	v_fma_f32 v4, v0, 2.0, -v6
	v_fma_f32 v0, v26, 2.0, -v3
	s_delay_alu instid0(VALU_DEP_4) | instskip(SKIP_1) | instid1(VALU_DEP_2)
	v_fma_f32 v1, v27, 2.0, -v2
	v_dual_add_f32 v2, v6, v2 :: v_dual_sub_f32 v3, v7, v3
	v_dual_sub_f32 v0, v4, v0 :: v_dual_sub_f32 v1, v5, v1
	s_delay_alu instid0(VALU_DEP_2) | instskip(NEXT) | instid1(VALU_DEP_3)
	v_fma_f32 v6, v6, 2.0, -v2
	v_fma_f32 v7, v7, 2.0, -v3
	s_delay_alu instid0(VALU_DEP_3) | instskip(NEXT) | instid1(VALU_DEP_4)
	v_fma_f32 v4, v4, 2.0, -v0
	v_fma_f32 v5, v5, 2.0, -v1
	ds_store_2addr_b64 v189, v[4:5], v[6:7] offset1:100
	scratch_load_b32 v4, off, off offset:12 ; 4-byte Folded Reload
	s_waitcnt vmcnt(0)
	ds_store_2addr_b64 v4, v[0:1], v[2:3] offset0:72 offset1:172
	s_waitcnt lgkmcnt(0)
	s_barrier
	buffer_gl0_inv
	ds_load_2addr_b64 v[0:3], v195 offset1:160
	s_waitcnt lgkmcnt(0)
	v_mul_f32_e32 v12, v168, v1
	v_mul_f32_e32 v14, v166, v3
	s_delay_alu instid0(VALU_DEP_2) | instskip(SKIP_1) | instid1(VALU_DEP_3)
	v_fmac_f32_e32 v12, v167, v0
	v_mul_f32_e32 v0, v168, v0
	v_fmac_f32_e32 v14, v165, v2
	s_delay_alu instid0(VALU_DEP_2) | instskip(SKIP_1) | instid1(VALU_DEP_1)
	v_fma_f32 v13, v167, v1, -v0
	v_mul_f32_e32 v0, v166, v2
	v_fma_f32 v15, v165, v3, -v0
	ds_load_2addr_b64 v[0:3], v197 offset0:64 offset1:224
	s_waitcnt lgkmcnt(0)
	v_mul_f32_e32 v16, v164, v1
	v_mul_f32_e32 v18, v162, v3
	s_delay_alu instid0(VALU_DEP_2) | instskip(SKIP_1) | instid1(VALU_DEP_3)
	v_fmac_f32_e32 v16, v163, v0
	v_mul_f32_e32 v0, v164, v0
	v_fmac_f32_e32 v18, v161, v2
	s_delay_alu instid0(VALU_DEP_2) | instskip(SKIP_1) | instid1(VALU_DEP_1)
	v_fma_f32 v17, v163, v1, -v0
	v_mul_f32_e32 v0, v162, v2
	v_fma_f32 v19, v161, v3, -v0
	ds_load_2addr_b64 v[0:3], v198 offset0:64 offset1:224
	s_waitcnt lgkmcnt(0)
	v_mul_f32_e32 v6, v160, v3
	v_mul_f32_e32 v20, v71, v1
	s_delay_alu instid0(VALU_DEP_2) | instskip(SKIP_1) | instid1(VALU_DEP_3)
	v_fmac_f32_e32 v6, v159, v2
	v_mul_f32_e32 v2, v160, v2
	v_fmac_f32_e32 v20, v70, v0
	v_mul_f32_e32 v0, v71, v0
	s_delay_alu instid0(VALU_DEP_3) | instskip(NEXT) | instid1(VALU_DEP_2)
	v_fma_f32 v7, v159, v3, -v2
	v_fma_f32 v21, v70, v1, -v0
	ds_load_2addr_b64 v[0:3], v193 offset1:160
	s_waitcnt lgkmcnt(0)
	v_mul_f32_e32 v22, v69, v3
	v_mul_f32_e32 v24, v65, v1
	s_delay_alu instid0(VALU_DEP_2) | instskip(SKIP_1) | instid1(VALU_DEP_3)
	v_fmac_f32_e32 v22, v68, v2
	v_mul_f32_e32 v2, v69, v2
	v_fmac_f32_e32 v24, v64, v0
	v_mul_f32_e32 v0, v65, v0
	s_delay_alu instid0(VALU_DEP_3) | instskip(NEXT) | instid1(VALU_DEP_2)
	v_fma_f32 v23, v68, v3, -v2
	v_fma_f32 v25, v64, v1, -v0
	ds_load_2addr_b64 v[0:3], v196 offset1:160
	s_waitcnt lgkmcnt(0)
	v_mul_f32_e32 v26, v67, v3
	v_mul_f32_e32 v28, v63, v1
	s_delay_alu instid0(VALU_DEP_2) | instskip(NEXT) | instid1(VALU_DEP_2)
	v_fmac_f32_e32 v26, v66, v2
	v_fmac_f32_e32 v28, v62, v0
	v_mul_f32_e32 v2, v67, v2
	v_mul_f32_e32 v0, v63, v0
	s_delay_alu instid0(VALU_DEP_2) | instskip(NEXT) | instid1(VALU_DEP_2)
	v_fma_f32 v27, v66, v3, -v2
	v_fma_f32 v29, v62, v1, -v0
	ds_load_2addr_b64 v[0:3], v200 offset0:64 offset1:224
	s_waitcnt lgkmcnt(0)
	v_mul_f32_e32 v30, v61, v3
	v_mul_f32_e32 v32, v57, v1
	s_delay_alu instid0(VALU_DEP_2) | instskip(SKIP_1) | instid1(VALU_DEP_3)
	v_fmac_f32_e32 v30, v60, v2
	v_mul_f32_e32 v2, v61, v2
	v_fmac_f32_e32 v32, v56, v0
	v_mul_f32_e32 v0, v57, v0
	s_delay_alu instid0(VALU_DEP_3) | instskip(NEXT) | instid1(VALU_DEP_2)
	v_fma_f32 v31, v60, v3, -v2
	v_fma_f32 v33, v56, v1, -v0
	ds_load_2addr_b64 v[0:3], v199 offset0:64 offset1:224
	s_waitcnt lgkmcnt(0)
	v_dual_sub_f32 v13, v33, v13 :: v_dual_mul_f32 v8, v59, v3
	v_mul_f32_e32 v10, v55, v1
	s_delay_alu instid0(VALU_DEP_2) | instskip(SKIP_1) | instid1(VALU_DEP_3)
	v_fmac_f32_e32 v8, v58, v2
	v_mul_f32_e32 v2, v59, v2
	v_fmac_f32_e32 v10, v54, v0
	v_mul_f32_e32 v0, v55, v0
	s_delay_alu instid0(VALU_DEP_3) | instskip(NEXT) | instid1(VALU_DEP_2)
	v_fma_f32 v9, v58, v3, -v2
	v_fma_f32 v11, v54, v1, -v0
	ds_load_2addr_b64 v[0:3], v194 offset1:160
	s_waitcnt lgkmcnt(0)
	v_mul_f32_e32 v34, v53, v3
	v_dual_sub_f32 v21, v1, v21 :: v_dual_sub_f32 v20, v0, v20
	s_delay_alu instid0(VALU_DEP_2) | instskip(SKIP_1) | instid1(VALU_DEP_1)
	v_fmac_f32_e32 v34, v52, v2
	v_mul_f32_e32 v2, v53, v2
	v_fma_f32 v35, v52, v3, -v2
	ds_load_2addr_b64 v[2:5], v192 offset1:160
	s_waitcnt lgkmcnt(0)
	v_dual_sub_f32 v10, v2, v10 :: v_dual_sub_f32 v11, v3, v11
	v_dual_sub_f32 v36, v4, v8 :: v_dual_sub_f32 v37, v5, v9
	s_delay_alu instid0(VALU_DEP_2) | instskip(NEXT) | instid1(VALU_DEP_3)
	v_fma_f32 v38, v2, 2.0, -v10
	v_fma_f32 v39, v3, 2.0, -v11
	v_dual_sub_f32 v2, v34, v6 :: v_dual_sub_f32 v3, v35, v7
	s_delay_alu instid0(VALU_DEP_4) | instskip(SKIP_1) | instid1(VALU_DEP_3)
	v_fma_f32 v40, v4, 2.0, -v36
	v_fma_f32 v41, v5, 2.0, -v37
	;; [unrolled: 1-line block ×3, first 2 shown]
	s_delay_alu instid0(VALU_DEP_4) | instskip(SKIP_1) | instid1(VALU_DEP_2)
	v_dual_sub_f32 v7, v11, v2 :: v_dual_add_f32 v6, v10, v3
	v_fma_f32 v2, v35, 2.0, -v3
	v_fma_f32 v9, v11, 2.0, -v7
	s_delay_alu instid0(VALU_DEP_3) | instskip(NEXT) | instid1(VALU_DEP_3)
	v_fma_f32 v8, v10, 2.0, -v6
	v_dual_sub_f32 v10, v38, v4 :: v_dual_sub_f32 v11, v39, v2
	ds_load_2addr_b64 v[2:5], v201 offset0:64 offset1:224
	v_sub_f32_e32 v12, v32, v12
	s_waitcnt lgkmcnt(0)
	s_barrier
	buffer_gl0_inv
	ds_store_b64 v192, v[8:9] offset:3200
	ds_store_b64 v192, v[10:11] offset:6400
	;; [unrolled: 1-line block ×3, first 2 shown]
	v_fma_f32 v6, v32, 2.0, -v12
	v_fma_f32 v7, v33, 2.0, -v13
	;; [unrolled: 1-line block ×3, first 2 shown]
	v_dual_sub_f32 v1, v37, v12 :: v_dual_sub_f32 v12, v22, v18
	s_delay_alu instid0(VALU_DEP_3) | instskip(SKIP_3) | instid1(VALU_DEP_4)
	v_dual_sub_f32 v6, v40, v6 :: v_dual_sub_f32 v7, v41, v7
	v_fma_f32 v8, v38, 2.0, -v10
	v_fma_f32 v9, v39, 2.0, -v11
	;; [unrolled: 1-line block ×5, first 2 shown]
	v_dual_add_f32 v0, v36, v13 :: v_dual_sub_f32 v13, v23, v19
	ds_store_2addr_b64 v192, v[8:9], v[10:11] offset1:160
	v_dual_sub_f32 v8, v2, v28 :: v_dual_sub_f32 v9, v3, v29
	v_dual_sub_f32 v10, v4, v26 :: v_dual_sub_f32 v11, v5, v27
	s_delay_alu instid0(VALU_DEP_2) | instskip(NEXT) | instid1(VALU_DEP_3)
	v_fma_f32 v26, v2, 2.0, -v8
	v_fma_f32 v27, v3, 2.0, -v9
	;; [unrolled: 1-line block ×4, first 2 shown]
	ds_store_b64 v192, v[2:3] offset:4480
	ds_store_b64 v192, v[6:7] offset:7680
	ds_store_b64 v192, v[0:1] offset:10880
	v_dual_sub_f32 v3, v30, v14 :: v_dual_sub_f32 v2, v31, v15
	v_fma_f32 v28, v4, 2.0, -v10
	v_fma_f32 v29, v5, 2.0, -v11
	s_delay_alu instid0(VALU_DEP_3) | instskip(NEXT) | instid1(VALU_DEP_4)
	v_fma_f32 v0, v30, 2.0, -v3
	v_fma_f32 v1, v31, 2.0, -v2
	v_dual_add_f32 v2, v8, v2 :: v_dual_sub_f32 v3, v9, v3
	s_delay_alu instid0(VALU_DEP_2) | instskip(NEXT) | instid1(VALU_DEP_2)
	v_dual_sub_f32 v0, v26, v0 :: v_dual_sub_f32 v1, v27, v1
	v_fma_f32 v6, v8, 2.0, -v2
	s_delay_alu instid0(VALU_DEP_3) | instskip(SKIP_1) | instid1(VALU_DEP_4)
	v_fma_f32 v7, v9, 2.0, -v3
	v_sub_f32_e32 v8, v24, v16
	v_fma_f32 v4, v26, 2.0, -v0
	v_fma_f32 v5, v27, 2.0, -v1
	v_sub_f32_e32 v9, v25, v17
	ds_store_b64 v218, v[4:5]
	ds_store_b64 v218, v[6:7] offset:3200
	ds_store_b64 v218, v[0:1] offset:6400
	;; [unrolled: 1-line block ×3, first 2 shown]
	v_fma_f32 v0, v24, 2.0, -v8
	v_fma_f32 v1, v25, 2.0, -v9
	;; [unrolled: 1-line block ×4, first 2 shown]
	s_delay_alu instid0(VALU_DEP_3) | instskip(NEXT) | instid1(VALU_DEP_2)
	v_dual_sub_f32 v0, v28, v0 :: v_dual_sub_f32 v1, v29, v1
	v_dual_sub_f32 v2, v32, v2 :: v_dual_sub_f32 v3, v33, v3
	s_delay_alu instid0(VALU_DEP_2) | instskip(NEXT) | instid1(VALU_DEP_3)
	v_fma_f32 v4, v28, 2.0, -v0
	v_fma_f32 v5, v29, 2.0, -v1
	s_delay_alu instid0(VALU_DEP_3) | instskip(NEXT) | instid1(VALU_DEP_4)
	v_fma_f32 v6, v32, 2.0, -v2
	v_fma_f32 v7, v33, 2.0, -v3
	ds_store_2addr_b64 v217, v[4:5], v[6:7] offset0:16 offset1:176
	ds_store_2addr_b64 v219, v[0:1], v[2:3] offset0:48 offset1:208
	v_dual_add_f32 v0, v10, v9 :: v_dual_sub_f32 v1, v11, v8
	v_dual_add_f32 v2, v20, v13 :: v_dual_sub_f32 v3, v21, v12
	s_delay_alu instid0(VALU_DEP_2) | instskip(NEXT) | instid1(VALU_DEP_3)
	v_fma_f32 v4, v10, 2.0, -v0
	v_fma_f32 v5, v11, 2.0, -v1
	s_delay_alu instid0(VALU_DEP_3) | instskip(NEXT) | instid1(VALU_DEP_4)
	v_fma_f32 v6, v20, 2.0, -v2
	v_fma_f32 v7, v21, 2.0, -v3
	ds_store_2addr_b64 v216, v[4:5], v[6:7] offset0:32 offset1:192
	ds_store_2addr_b64 v197, v[0:1], v[2:3] offset0:64 offset1:224
	s_waitcnt lgkmcnt(0)
	s_barrier
	buffer_gl0_inv
	ds_load_2addr_b64 v[0:3], v199 offset0:64 offset1:224
	s_waitcnt lgkmcnt(0)
	v_mul_f32_e32 v4, v170, v1
	v_mul_f32_e32 v6, v176, v3
	s_delay_alu instid0(VALU_DEP_2) | instskip(SKIP_1) | instid1(VALU_DEP_3)
	v_fmac_f32_e32 v4, v169, v0
	v_mul_f32_e32 v0, v170, v0
	v_fmac_f32_e32 v6, v175, v2
	s_delay_alu instid0(VALU_DEP_2) | instskip(SKIP_1) | instid1(VALU_DEP_1)
	v_fma_f32 v5, v169, v1, -v0
	v_mul_f32_e32 v0, v176, v2
	v_fma_f32 v7, v175, v3, -v0
	ds_load_2addr_b64 v[0:3], v196 offset1:160
	s_waitcnt lgkmcnt(0)
	v_mul_f32_e32 v22, v172, v1
	v_mul_f32_e32 v24, v174, v3
	s_delay_alu instid0(VALU_DEP_2) | instskip(SKIP_1) | instid1(VALU_DEP_3)
	v_fmac_f32_e32 v22, v171, v0
	v_mul_f32_e32 v0, v172, v0
	v_fmac_f32_e32 v24, v173, v2
	s_delay_alu instid0(VALU_DEP_2) | instskip(SKIP_1) | instid1(VALU_DEP_1)
	v_fma_f32 v23, v171, v1, -v0
	v_mul_f32_e32 v0, v174, v2
	v_fma_f32 v25, v173, v3, -v0
	ds_load_2addr_b64 v[0:3], v198 offset0:64 offset1:224
	s_waitcnt lgkmcnt(0)
	v_mul_f32_e32 v26, v188, v1
	v_mul_f32_e32 v28, v184, v3
	s_delay_alu instid0(VALU_DEP_2) | instskip(SKIP_1) | instid1(VALU_DEP_3)
	v_fmac_f32_e32 v26, v187, v0
	v_mul_f32_e32 v0, v188, v0
	v_fmac_f32_e32 v28, v183, v2
	s_delay_alu instid0(VALU_DEP_2) | instskip(SKIP_1) | instid1(VALU_DEP_1)
	v_fma_f32 v27, v187, v1, -v0
	v_mul_f32_e32 v0, v184, v2
	v_fma_f32 v29, v183, v3, -v0
	ds_load_2addr_b64 v[0:3], v195 offset1:160
	s_waitcnt lgkmcnt(0)
	v_mul_f32_e32 v30, v180, v1
	v_mul_f32_e32 v32, v178, v3
	s_delay_alu instid0(VALU_DEP_2) | instskip(SKIP_1) | instid1(VALU_DEP_3)
	v_fmac_f32_e32 v30, v179, v0
	v_mul_f32_e32 v0, v180, v0
	v_fmac_f32_e32 v32, v177, v2
	s_delay_alu instid0(VALU_DEP_2) | instskip(SKIP_1) | instid1(VALU_DEP_1)
	v_fma_f32 v31, v179, v1, -v0
	v_mul_f32_e32 v0, v178, v2
	v_fma_f32 v33, v177, v3, -v0
	ds_load_2addr_b64 v[0:3], v197 offset0:64 offset1:224
	s_waitcnt lgkmcnt(0)
	v_mul_f32_e32 v34, v186, v1
	v_mul_f32_e32 v36, v182, v3
	s_delay_alu instid0(VALU_DEP_2) | instskip(SKIP_1) | instid1(VALU_DEP_3)
	v_fmac_f32_e32 v34, v185, v0
	v_mul_f32_e32 v0, v186, v0
	v_fmac_f32_e32 v36, v181, v2
	s_delay_alu instid0(VALU_DEP_2) | instskip(SKIP_1) | instid1(VALU_DEP_1)
	v_fma_f32 v35, v185, v1, -v0
	v_mul_f32_e32 v0, v182, v2
	v_fma_f32 v37, v181, v3, -v0
	ds_load_2addr_b64 v[0:3], v192 offset1:160
	s_waitcnt lgkmcnt(0)
	v_dual_sub_f32 v4, v0, v4 :: v_dual_sub_f32 v5, v1, v5
	v_dual_sub_f32 v16, v2, v6 :: v_dual_sub_f32 v17, v3, v7
	s_delay_alu instid0(VALU_DEP_2)
	v_fma_f32 v18, v0, 2.0, -v4
	ds_store_b64 v192, v[4:5] offset:12800
	v_fma_f32 v19, v1, 2.0, -v5
	v_fma_f32 v20, v2, 2.0, -v16
	;; [unrolled: 1-line block ×3, first 2 shown]
	ds_load_2addr_b64 v[0:3], v201 offset0:64 offset1:224
	ds_load_2addr_b64 v[4:7], v194 offset1:160
	ds_load_2addr_b64 v[8:11], v200 offset0:64 offset1:224
	ds_load_2addr_b64 v[12:15], v193 offset1:160
	ds_store_2addr_b64 v192, v[18:19], v[20:21] offset1:160
	s_waitcnt lgkmcnt(4)
	v_dual_sub_f32 v18, v0, v22 :: v_dual_sub_f32 v19, v1, v23
	s_delay_alu instid0(VALU_DEP_1) | instskip(SKIP_3) | instid1(VALU_DEP_2)
	v_fma_f32 v0, v0, 2.0, -v18
	ds_store_2addr_b64 v222, v[16:17], v[18:19] offset0:32 offset1:192
	v_dual_sub_f32 v16, v2, v24 :: v_dual_sub_f32 v17, v3, v25
	v_fma_f32 v1, v1, 2.0, -v19
	v_fma_f32 v2, v2, 2.0, -v16
	s_delay_alu instid0(VALU_DEP_3)
	v_fma_f32 v3, v3, 2.0, -v17
	ds_store_2addr_b64 v201, v[0:1], v[2:3] offset0:64 offset1:224
	s_waitcnt lgkmcnt(5)
	v_dual_sub_f32 v0, v4, v26 :: v_dual_sub_f32 v1, v5, v27
	v_dual_sub_f32 v2, v6, v28 :: v_dual_sub_f32 v3, v7, v29
	ds_store_2addr_b64 v216, v[16:17], v[0:1] offset0:32 offset1:192
	v_fma_f32 v0, v4, 2.0, -v0
	v_fma_f32 v1, v5, 2.0, -v1
	;; [unrolled: 1-line block ×4, first 2 shown]
	s_waitcnt lgkmcnt(5)
	v_dual_sub_f32 v6, v8, v30 :: v_dual_sub_f32 v7, v9, v31
	ds_store_2addr_b64 v221, v[2:3], v[6:7] offset0:32 offset1:192
	v_fma_f32 v2, v8, 2.0, -v6
	v_fma_f32 v3, v9, 2.0, -v7
	v_dual_sub_f32 v6, v10, v32 :: v_dual_sub_f32 v7, v11, v33
	s_delay_alu instid0(VALU_DEP_1) | instskip(NEXT) | instid1(VALU_DEP_2)
	v_fma_f32 v8, v10, 2.0, -v6
	v_fma_f32 v9, v11, 2.0, -v7
	ds_store_2addr_b64 v194, v[0:1], v[4:5] offset1:160
	ds_store_2addr_b64 v200, v[2:3], v[8:9] offset0:64 offset1:224
	s_waitcnt lgkmcnt(7)
	v_dual_sub_f32 v0, v12, v34 :: v_dual_sub_f32 v1, v13, v35
	v_dual_sub_f32 v2, v14, v36 :: v_dual_sub_f32 v3, v15, v37
	ds_store_2addr_b64 v220, v[6:7], v[0:1] offset0:32 offset1:192
	v_fma_f32 v0, v12, 2.0, -v0
	v_fma_f32 v1, v13, 2.0, -v1
	;; [unrolled: 1-line block ×4, first 2 shown]
	ds_store_2addr_b64 v193, v[0:1], v[4:5] offset1:160
	ds_store_b64 v192, v[2:3] offset:24320
	s_waitcnt lgkmcnt(0)
	s_barrier
	buffer_gl0_inv
	ds_load_2addr_b64 v[1:4], v192 offset1:160
	s_waitcnt lgkmcnt(0)
	v_mul_f32_e32 v0, v128, v2
	v_mul_f32_e32 v24, v126, v4
	s_delay_alu instid0(VALU_DEP_2) | instskip(NEXT) | instid1(VALU_DEP_2)
	v_fmac_f32_e32 v0, v127, v1
	v_dual_mul_f32 v1, v128, v1 :: v_dual_fmac_f32 v24, v125, v3
	s_delay_alu instid0(VALU_DEP_1) | instskip(SKIP_1) | instid1(VALU_DEP_1)
	v_fma_f32 v1, v127, v2, -v1
	v_mul_f32_e32 v2, v126, v3
	v_fma_f32 v25, v125, v4, -v2
	ds_load_2addr_b64 v[2:5], v201 offset0:64 offset1:224
	s_waitcnt lgkmcnt(0)
	v_mul_f32_e32 v8, v108, v3
	v_mul_f32_e32 v26, v124, v5
	s_delay_alu instid0(VALU_DEP_2) | instskip(SKIP_1) | instid1(VALU_DEP_3)
	v_fmac_f32_e32 v8, v107, v2
	v_mul_f32_e32 v2, v108, v2
	v_fmac_f32_e32 v26, v123, v4
	s_delay_alu instid0(VALU_DEP_2) | instskip(SKIP_1) | instid1(VALU_DEP_1)
	v_fma_f32 v9, v107, v3, -v2
	v_mul_f32_e32 v2, v124, v4
	v_fma_f32 v27, v123, v5, -v2
	ds_load_2addr_b64 v[2:5], v194 offset1:160
	s_waitcnt lgkmcnt(0)
	v_mul_f32_e32 v10, v140, v3
	v_mul_f32_e32 v28, v136, v5
	s_delay_alu instid0(VALU_DEP_2) | instskip(SKIP_1) | instid1(VALU_DEP_3)
	v_fmac_f32_e32 v10, v139, v2
	v_mul_f32_e32 v2, v140, v2
	v_fmac_f32_e32 v28, v135, v4
	s_delay_alu instid0(VALU_DEP_2) | instskip(SKIP_1) | instid1(VALU_DEP_1)
	v_fma_f32 v11, v139, v3, -v2
	v_mul_f32_e32 v2, v136, v4
	v_fma_f32 v29, v135, v5, -v2
	ds_load_2addr_b64 v[2:5], v200 offset0:64 offset1:224
	s_waitcnt lgkmcnt(0)
	v_mul_f32_e32 v12, v134, v3
	v_mul_f32_e32 v30, v144, v5
	s_delay_alu instid0(VALU_DEP_2) | instskip(SKIP_1) | instid1(VALU_DEP_3)
	v_fmac_f32_e32 v12, v133, v2
	v_mul_f32_e32 v2, v134, v2
	v_fmac_f32_e32 v30, v143, v4
	s_delay_alu instid0(VALU_DEP_2) | instskip(SKIP_1) | instid1(VALU_DEP_1)
	v_fma_f32 v13, v133, v3, -v2
	v_mul_f32_e32 v2, v144, v4
	v_fma_f32 v31, v143, v5, -v2
	ds_load_2addr_b64 v[2:5], v193 offset1:160
	s_waitcnt lgkmcnt(0)
	v_mul_f32_e32 v14, v106, v3
	v_mul_f32_e32 v32, v142, v5
	s_delay_alu instid0(VALU_DEP_2) | instskip(SKIP_1) | instid1(VALU_DEP_3)
	v_fmac_f32_e32 v14, v105, v2
	v_mul_f32_e32 v2, v106, v2
	v_fmac_f32_e32 v32, v141, v4
	s_delay_alu instid0(VALU_DEP_2) | instskip(SKIP_1) | instid1(VALU_DEP_1)
	;; [unrolled: 24-line block ×4, first 2 shown]
	v_fma_f32 v23, v109, v3, -v2
	v_mul_f32_e32 v2, v118, v4
	v_fma_f32 v41, v117, v5, -v2
	ds_load_2addr_b64 v[2:5], v197 offset0:64 offset1:224
	s_waitcnt lgkmcnt(0)
	v_mul_f32_e32 v42, v120, v3
	v_mul_f32_e32 v44, v114, v5
	s_delay_alu instid0(VALU_DEP_2) | instskip(SKIP_1) | instid1(VALU_DEP_3)
	v_fmac_f32_e32 v42, v119, v2
	v_mul_f32_e32 v2, v120, v2
	v_fmac_f32_e32 v44, v113, v4
	s_delay_alu instid0(VALU_DEP_2) | instskip(SKIP_1) | instid1(VALU_DEP_1)
	v_fma_f32 v43, v119, v3, -v2
	v_mul_f32_e32 v2, v114, v4
	v_fma_f32 v45, v113, v5, -v2
	v_mad_u64_u32 v[2:3], null, s6, v213, 0
	s_mul_i32 s6, s5, 0x1400
	s_delay_alu instid0(VALU_DEP_1) | instskip(NEXT) | instid1(VALU_DEP_1)
	v_mad_u64_u32 v[4:5], null, s7, v213, v[3:4]
	v_mov_b32_e32 v3, v4
	v_mad_u64_u32 v[4:5], null, s4, v190, 0
	s_delay_alu instid0(VALU_DEP_1) | instskip(NEXT) | instid1(VALU_DEP_1)
	v_mad_u64_u32 v[6:7], null, s5, v190, v[5:6]
	v_mov_b32_e32 v5, v6
	v_cvt_f64_f32_e32 v[6:7], v0
	v_cvt_f64_f32_e32 v[0:1], v1
	s_delay_alu instid0(VALU_DEP_2) | instskip(NEXT) | instid1(VALU_DEP_2)
	v_mul_f64 v[6:7], v[6:7], s[2:3]
	v_mul_f64 v[0:1], v[0:1], s[2:3]
	s_delay_alu instid0(VALU_DEP_2) | instskip(NEXT) | instid1(VALU_DEP_2)
	v_cvt_f32_f64_e32 v6, v[6:7]
	v_cvt_f32_f64_e32 v7, v[0:1]
	v_lshlrev_b64 v[0:1], 3, v[2:3]
	v_cvt_f64_f32_e32 v[2:3], v8
	s_delay_alu instid0(VALU_DEP_2) | instskip(NEXT) | instid1(VALU_DEP_3)
	v_add_co_u32 v46, vcc_lo, s0, v0
	v_add_co_ci_u32_e32 v47, vcc_lo, s1, v1, vcc_lo
	v_lshlrev_b64 v[0:1], 3, v[4:5]
	v_cvt_f64_f32_e32 v[4:5], v9
	v_cvt_f64_f32_e32 v[8:9], v13
	s_mul_i32 s0, s5, 0xa00
	s_mul_hi_u32 s1, s4, 0xa00
	s_delay_alu instid0(VALU_DEP_3)
	v_add_co_u32 v0, vcc_lo, v46, v0
	v_add_co_ci_u32_e32 v1, vcc_lo, v47, v1, vcc_lo
	s_add_i32 s0, s1, s0
	s_mul_i32 s1, s4, 0xa00
	global_store_b64 v[0:1], v[6:7], off
	v_cvt_f64_f32_e32 v[6:7], v11
	v_mul_f64 v[2:3], v[2:3], s[2:3]
	v_add_co_u32 v0, vcc_lo, v0, s1
	v_add_co_ci_u32_e32 v1, vcc_lo, s0, v1, vcc_lo
	v_mul_f64 v[4:5], v[4:5], s[2:3]
	v_mul_f64 v[8:9], v[8:9], s[2:3]
	;; [unrolled: 1-line block ×3, first 2 shown]
	v_cvt_f32_f64_e32 v2, v[2:3]
	s_delay_alu instid0(VALU_DEP_4)
	v_cvt_f32_f64_e32 v3, v[4:5]
	v_cvt_f64_f32_e32 v[4:5], v10
	scratch_load_b32 v10, off, off          ; 4-byte Folded Reload
	global_store_b64 v[0:1], v[2:3], off
	v_mul_f64 v[4:5], v[4:5], s[2:3]
	v_add_co_u32 v0, vcc_lo, v0, s1
	v_add_co_ci_u32_e32 v1, vcc_lo, s0, v1, vcc_lo
	s_delay_alu instid0(VALU_DEP_3)
	v_cvt_f32_f64_e32 v4, v[4:5]
	v_cvt_f32_f64_e32 v5, v[6:7]
	v_cvt_f64_f32_e32 v[6:7], v12
	v_cvt_f64_f32_e32 v[12:13], v17
	global_store_b64 v[0:1], v[4:5], off
	v_mul_f64 v[6:7], v[6:7], s[2:3]
	v_add_co_u32 v0, vcc_lo, v0, s1
	v_add_co_ci_u32_e32 v1, vcc_lo, s0, v1, vcc_lo
	v_mul_f64 v[12:13], v[12:13], s[2:3]
	s_delay_alu instid0(VALU_DEP_4) | instskip(SKIP_4) | instid1(VALU_DEP_1)
	v_cvt_f32_f64_e32 v6, v[6:7]
	v_cvt_f32_f64_e32 v7, v[8:9]
	global_store_b64 v[0:1], v[6:7], off
	s_waitcnt vmcnt(0)
	v_mad_u64_u32 v[2:3], null, s4, v10, 0
	v_mad_u64_u32 v[8:9], null, s5, v10, v[3:4]
	v_cvt_f64_f32_e32 v[10:11], v15
	s_delay_alu instid0(VALU_DEP_2) | instskip(SKIP_2) | instid1(VALU_DEP_3)
	v_mov_b32_e32 v3, v8
	v_cvt_f64_f32_e32 v[8:9], v14
	v_cvt_f64_f32_e32 v[14:15], v19
	v_lshlrev_b64 v[2:3], 3, v[2:3]
	s_delay_alu instid0(VALU_DEP_1) | instskip(NEXT) | instid1(VALU_DEP_2)
	v_add_co_u32 v2, vcc_lo, v46, v2
	v_add_co_ci_u32_e32 v3, vcc_lo, v47, v3, vcc_lo
	v_mul_f64 v[10:11], v[10:11], s[2:3]
	v_mul_f64 v[8:9], v[8:9], s[2:3]
	v_mul_f64 v[14:15], v[14:15], s[2:3]
	s_delay_alu instid0(VALU_DEP_2) | instskip(NEXT) | instid1(VALU_DEP_4)
	v_cvt_f32_f64_e32 v8, v[8:9]
	v_cvt_f32_f64_e32 v9, v[10:11]
	scratch_load_b32 v10, off, off offset:4 ; 4-byte Folded Reload
	global_store_b64 v[2:3], v[8:9], off
	v_cvt_f64_f32_e32 v[2:3], v24
	v_cvt_f64_f32_e32 v[8:9], v26
	s_delay_alu instid0(VALU_DEP_2) | instskip(NEXT) | instid1(VALU_DEP_2)
	v_mul_f64 v[2:3], v[2:3], s[2:3]
	v_mul_f64 v[8:9], v[8:9], s[2:3]
	s_delay_alu instid0(VALU_DEP_2) | instskip(NEXT) | instid1(VALU_DEP_2)
	v_cvt_f32_f64_e32 v2, v[2:3]
	v_cvt_f32_f64_e32 v8, v[8:9]
	s_waitcnt vmcnt(0)
	v_mad_u64_u32 v[4:5], null, s4, v10, 0
	s_delay_alu instid0(VALU_DEP_1) | instskip(SKIP_2) | instid1(VALU_DEP_3)
	v_mad_u64_u32 v[6:7], null, s5, v10, v[5:6]
	v_cvt_f64_f32_e32 v[10:11], v16
	v_cvt_f64_f32_e32 v[16:17], v21
	v_mov_b32_e32 v5, v6
	s_delay_alu instid0(VALU_DEP_3) | instskip(NEXT) | instid1(VALU_DEP_3)
	v_mul_f64 v[10:11], v[10:11], s[2:3]
	v_mul_f64 v[16:17], v[16:17], s[2:3]
	s_delay_alu instid0(VALU_DEP_2) | instskip(SKIP_3) | instid1(VALU_DEP_2)
	v_cvt_f32_f64_e32 v10, v[10:11]
	v_cvt_f32_f64_e32 v11, v[12:13]
	v_cvt_f64_f32_e32 v[12:13], v18
	v_cvt_f64_f32_e32 v[18:19], v23
	v_mul_f64 v[12:13], v[12:13], s[2:3]
	s_delay_alu instid0(VALU_DEP_2) | instskip(NEXT) | instid1(VALU_DEP_2)
	v_mul_f64 v[18:19], v[18:19], s[2:3]
	v_cvt_f32_f64_e32 v12, v[12:13]
	v_cvt_f32_f64_e32 v13, v[14:15]
	v_cvt_f64_f32_e32 v[14:15], v20
	v_cvt_f64_f32_e32 v[20:21], v43
	s_delay_alu instid0(VALU_DEP_2) | instskip(NEXT) | instid1(VALU_DEP_2)
	v_mul_f64 v[14:15], v[14:15], s[2:3]
	v_mul_f64 v[20:21], v[20:21], s[2:3]
	s_delay_alu instid0(VALU_DEP_2)
	v_cvt_f32_f64_e32 v14, v[14:15]
	v_cvt_f32_f64_e32 v15, v[16:17]
	v_cvt_f64_f32_e32 v[16:17], v22
	v_mad_u64_u32 v[22:23], null, 0x1400, s4, v[0:1]
	v_lshlrev_b64 v[0:1], 3, v[4:5]
	v_cvt_f64_f32_e32 v[4:5], v25
	v_cvt_f64_f32_e32 v[24:25], v30
	s_delay_alu instid0(VALU_DEP_4) | instskip(SKIP_1) | instid1(VALU_DEP_2)
	v_add_nc_u32_e32 v23, s6, v23
	v_add_co_u32 v6, vcc_lo, v22, s1
	v_add_co_ci_u32_e32 v7, vcc_lo, s0, v23, vcc_lo
	v_add_co_u32 v0, vcc_lo, v46, v0
	global_store_b64 v[22:23], v[10:11], off
	global_store_b64 v[6:7], v[12:13], off
	v_cvt_f64_f32_e32 v[10:11], v27
	v_cvt_f64_f32_e32 v[12:13], v28
	;; [unrolled: 1-line block ×3, first 2 shown]
	v_add_co_ci_u32_e32 v1, vcc_lo, v47, v1, vcc_lo
	v_add_co_u32 v6, vcc_lo, v6, s1
	v_add_co_ci_u32_e32 v7, vcc_lo, s0, v7, vcc_lo
	v_cvt_f64_f32_e32 v[26:27], v31
	v_cvt_f64_f32_e32 v[28:29], v36
	;; [unrolled: 1-line block ×4, first 2 shown]
	v_mul_f64 v[16:17], v[16:17], s[2:3]
	v_mul_f64 v[4:5], v[4:5], s[2:3]
	v_mul_f64 v[10:11], v[10:11], s[2:3]
	s_delay_alu instid0(VALU_DEP_3)
	v_cvt_f32_f64_e32 v16, v[16:17]
	v_cvt_f32_f64_e32 v17, v[18:19]
	v_cvt_f64_f32_e32 v[18:19], v42
	global_store_b64 v[6:7], v[14:15], off
	global_store_b64 v[0:1], v[16:17], off
	v_cvt_f64_f32_e32 v[14:15], v32
	v_mul_f64 v[18:19], v[18:19], s[2:3]
	v_cvt_f64_f32_e32 v[16:17], v33
	v_cvt_f32_f64_e32 v1, v[20:21]
	v_cvt_f64_f32_e32 v[20:21], v35
	v_cvt_f64_f32_e32 v[32:33], v38
	;; [unrolled: 1-line block ×3, first 2 shown]
	v_cvt_f32_f64_e32 v3, v[4:5]
	v_cvt_f32_f64_e32 v9, v[10:11]
	v_mul_f64 v[14:15], v[14:15], s[2:3]
	v_cvt_f32_f64_e32 v0, v[18:19]
	v_cvt_f64_f32_e32 v[18:19], v34
	v_cvt_f64_f32_e32 v[34:35], v39
	;; [unrolled: 1-line block ×4, first 2 shown]
	v_mad_u64_u32 v[44:45], null, 0x1400, s4, v[6:7]
	v_mul_f64 v[6:7], v[12:13], s[2:3]
	v_mul_f64 v[12:13], v[22:23], s[2:3]
	;; [unrolled: 1-line block ×9, first 2 shown]
	v_add_nc_u32_e32 v45, s6, v45
	s_delay_alu instid0(VALU_DEP_1) | instskip(NEXT) | instid1(VALU_DEP_1)
	v_mad_u64_u32 v[4:5], null, 0xffffab00, s4, v[44:45]
	v_add_co_u32 v10, vcc_lo, v4, s1
	v_cvt_f32_f64_e32 v14, v[14:15]
	global_store_b64 v[44:45], v[0:1], off
	v_mul_f64 v[18:19], v[18:19], s[2:3]
	v_mul_f64 v[32:33], v[34:35], s[2:3]
	;; [unrolled: 1-line block ×6, first 2 shown]
	v_cvt_f32_f64_e32 v6, v[6:7]
	v_cvt_f32_f64_e32 v7, v[12:13]
	s_mul_i32 s2, s5, 0xffffab00
	v_cvt_f32_f64_e32 v12, v[22:23]
	s_sub_i32 s2, s2, s4
	v_cvt_f32_f64_e32 v13, v[24:25]
	v_add_nc_u32_e32 v5, s2, v5
	v_cvt_f32_f64_e32 v15, v[16:17]
	v_cvt_f32_f64_e32 v17, v[20:21]
	;; [unrolled: 1-line block ×3, first 2 shown]
	s_delay_alu instid0(VALU_DEP_4)
	v_add_co_ci_u32_e32 v11, vcc_lo, s0, v5, vcc_lo
	v_add_co_u32 v22, vcc_lo, v10, s1
	global_store_b64 v[4:5], v[2:3], off
	v_add_co_ci_u32_e32 v23, vcc_lo, s0, v11, vcc_lo
	global_store_b64 v[10:11], v[8:9], off
	v_cvt_f32_f64_e32 v16, v[18:19]
	v_cvt_f32_f64_e32 v18, v[26:27]
	;; [unrolled: 1-line block ×8, first 2 shown]
	v_add_co_u32 v28, vcc_lo, v22, s1
	v_add_co_ci_u32_e32 v29, vcc_lo, s0, v23, vcc_lo
	global_store_b64 v[22:23], v[6:7], off
	v_add_co_u32 v0, vcc_lo, v28, s1
	v_add_co_ci_u32_e32 v1, vcc_lo, s0, v29, vcc_lo
	global_store_b64 v[28:29], v[12:13], off
	;; [unrolled: 3-line block ×3, first 2 shown]
	v_add_co_u32 v4, vcc_lo, v2, s1
	v_add_co_ci_u32_e32 v5, vcc_lo, s0, v3, vcc_lo
	s_delay_alu instid0(VALU_DEP_2) | instskip(NEXT) | instid1(VALU_DEP_2)
	v_add_co_u32 v6, vcc_lo, v4, s1
	v_add_co_ci_u32_e32 v7, vcc_lo, s0, v5, vcc_lo
	s_delay_alu instid0(VALU_DEP_2) | instskip(NEXT) | instid1(VALU_DEP_2)
	;; [unrolled: 3-line block ×3, first 2 shown]
	v_add_co_u32 v0, vcc_lo, v8, s1
	v_add_co_ci_u32_e32 v1, vcc_lo, s0, v9, vcc_lo
	global_store_b64 v[2:3], v[16:17], off
	global_store_b64 v[4:5], v[18:19], off
	;; [unrolled: 1-line block ×5, first 2 shown]
.LBB0_2:
	s_nop 0
	s_sendmsg sendmsg(MSG_DEALLOC_VGPRS)
	s_endpgm
	.section	.rodata,"a",@progbits
	.p2align	6, 0x0
	.amdhsa_kernel bluestein_single_fwd_len3200_dim1_sp_op_CI_CI
		.amdhsa_group_segment_fixed_size 25600
		.amdhsa_private_segment_fixed_size 32
		.amdhsa_kernarg_size 104
		.amdhsa_user_sgpr_count 15
		.amdhsa_user_sgpr_dispatch_ptr 0
		.amdhsa_user_sgpr_queue_ptr 0
		.amdhsa_user_sgpr_kernarg_segment_ptr 1
		.amdhsa_user_sgpr_dispatch_id 0
		.amdhsa_user_sgpr_private_segment_size 0
		.amdhsa_wavefront_size32 1
		.amdhsa_uses_dynamic_stack 0
		.amdhsa_enable_private_segment 1
		.amdhsa_system_sgpr_workgroup_id_x 1
		.amdhsa_system_sgpr_workgroup_id_y 0
		.amdhsa_system_sgpr_workgroup_id_z 0
		.amdhsa_system_sgpr_workgroup_info 0
		.amdhsa_system_vgpr_workitem_id 0
		.amdhsa_next_free_vgpr 256
		.amdhsa_next_free_sgpr 20
		.amdhsa_reserve_vcc 1
		.amdhsa_float_round_mode_32 0
		.amdhsa_float_round_mode_16_64 0
		.amdhsa_float_denorm_mode_32 3
		.amdhsa_float_denorm_mode_16_64 3
		.amdhsa_dx10_clamp 1
		.amdhsa_ieee_mode 1
		.amdhsa_fp16_overflow 0
		.amdhsa_workgroup_processor_mode 1
		.amdhsa_memory_ordered 1
		.amdhsa_forward_progress 0
		.amdhsa_shared_vgpr_count 0
		.amdhsa_exception_fp_ieee_invalid_op 0
		.amdhsa_exception_fp_denorm_src 0
		.amdhsa_exception_fp_ieee_div_zero 0
		.amdhsa_exception_fp_ieee_overflow 0
		.amdhsa_exception_fp_ieee_underflow 0
		.amdhsa_exception_fp_ieee_inexact 0
		.amdhsa_exception_int_div_zero 0
	.end_amdhsa_kernel
	.text
.Lfunc_end0:
	.size	bluestein_single_fwd_len3200_dim1_sp_op_CI_CI, .Lfunc_end0-bluestein_single_fwd_len3200_dim1_sp_op_CI_CI
                                        ; -- End function
	.section	.AMDGPU.csdata,"",@progbits
; Kernel info:
; codeLenInByte = 22068
; NumSgprs: 22
; NumVgprs: 256
; ScratchSize: 32
; MemoryBound: 0
; FloatMode: 240
; IeeeMode: 1
; LDSByteSize: 25600 bytes/workgroup (compile time only)
; SGPRBlocks: 2
; VGPRBlocks: 31
; NumSGPRsForWavesPerEU: 22
; NumVGPRsForWavesPerEU: 256
; Occupancy: 5
; WaveLimiterHint : 1
; COMPUTE_PGM_RSRC2:SCRATCH_EN: 1
; COMPUTE_PGM_RSRC2:USER_SGPR: 15
; COMPUTE_PGM_RSRC2:TRAP_HANDLER: 0
; COMPUTE_PGM_RSRC2:TGID_X_EN: 1
; COMPUTE_PGM_RSRC2:TGID_Y_EN: 0
; COMPUTE_PGM_RSRC2:TGID_Z_EN: 0
; COMPUTE_PGM_RSRC2:TIDIG_COMP_CNT: 0
	.text
	.p2alignl 7, 3214868480
	.fill 96, 4, 3214868480
	.type	__hip_cuid_43a89d968aed687,@object ; @__hip_cuid_43a89d968aed687
	.section	.bss,"aw",@nobits
	.globl	__hip_cuid_43a89d968aed687
__hip_cuid_43a89d968aed687:
	.byte	0                               ; 0x0
	.size	__hip_cuid_43a89d968aed687, 1

	.ident	"AMD clang version 19.0.0git (https://github.com/RadeonOpenCompute/llvm-project roc-6.4.0 25133 c7fe45cf4b819c5991fe208aaa96edf142730f1d)"
	.section	".note.GNU-stack","",@progbits
	.addrsig
	.addrsig_sym __hip_cuid_43a89d968aed687
	.amdgpu_metadata
---
amdhsa.kernels:
  - .args:
      - .actual_access:  read_only
        .address_space:  global
        .offset:         0
        .size:           8
        .value_kind:     global_buffer
      - .actual_access:  read_only
        .address_space:  global
        .offset:         8
        .size:           8
        .value_kind:     global_buffer
      - .actual_access:  read_only
        .address_space:  global
        .offset:         16
        .size:           8
        .value_kind:     global_buffer
      - .actual_access:  read_only
        .address_space:  global
        .offset:         24
        .size:           8
        .value_kind:     global_buffer
      - .actual_access:  read_only
        .address_space:  global
        .offset:         32
        .size:           8
        .value_kind:     global_buffer
      - .offset:         40
        .size:           8
        .value_kind:     by_value
      - .address_space:  global
        .offset:         48
        .size:           8
        .value_kind:     global_buffer
      - .address_space:  global
        .offset:         56
        .size:           8
        .value_kind:     global_buffer
      - .address_space:  global
        .offset:         64
        .size:           8
        .value_kind:     global_buffer
      - .address_space:  global
        .offset:         72
        .size:           8
        .value_kind:     global_buffer
      - .offset:         80
        .size:           4
        .value_kind:     by_value
      - .address_space:  global
        .offset:         88
        .size:           8
        .value_kind:     global_buffer
      - .address_space:  global
        .offset:         96
        .size:           8
        .value_kind:     global_buffer
    .group_segment_fixed_size: 25600
    .kernarg_segment_align: 8
    .kernarg_segment_size: 104
    .language:       OpenCL C
    .language_version:
      - 2
      - 0
    .max_flat_workgroup_size: 160
    .name:           bluestein_single_fwd_len3200_dim1_sp_op_CI_CI
    .private_segment_fixed_size: 32
    .sgpr_count:     22
    .sgpr_spill_count: 0
    .symbol:         bluestein_single_fwd_len3200_dim1_sp_op_CI_CI.kd
    .uniform_work_group_size: 1
    .uses_dynamic_stack: false
    .vgpr_count:     256
    .vgpr_spill_count: 7
    .wavefront_size: 32
    .workgroup_processor_mode: 1
amdhsa.target:   amdgcn-amd-amdhsa--gfx1100
amdhsa.version:
  - 1
  - 2
...

	.end_amdgpu_metadata
